;; amdgpu-corpus repo=ROCm/rocFFT kind=compiled arch=gfx1100 opt=O3
	.text
	.amdgcn_target "amdgcn-amd-amdhsa--gfx1100"
	.amdhsa_code_object_version 6
	.protected	fft_rtc_fwd_len1248_factors_2_2_13_2_3_2_2_wgs_52_tpt_52_halfLds_dp_op_CI_CI_unitstride_sbrr_R2C_dirReg ; -- Begin function fft_rtc_fwd_len1248_factors_2_2_13_2_3_2_2_wgs_52_tpt_52_halfLds_dp_op_CI_CI_unitstride_sbrr_R2C_dirReg
	.globl	fft_rtc_fwd_len1248_factors_2_2_13_2_3_2_2_wgs_52_tpt_52_halfLds_dp_op_CI_CI_unitstride_sbrr_R2C_dirReg
	.p2align	8
	.type	fft_rtc_fwd_len1248_factors_2_2_13_2_3_2_2_wgs_52_tpt_52_halfLds_dp_op_CI_CI_unitstride_sbrr_R2C_dirReg,@function
fft_rtc_fwd_len1248_factors_2_2_13_2_3_2_2_wgs_52_tpt_52_halfLds_dp_op_CI_CI_unitstride_sbrr_R2C_dirReg: ; @fft_rtc_fwd_len1248_factors_2_2_13_2_3_2_2_wgs_52_tpt_52_halfLds_dp_op_CI_CI_unitstride_sbrr_R2C_dirReg
; %bb.0:
	s_clause 0x2
	s_load_b128 s[8:11], s[0:1], 0x0
	s_load_b128 s[4:7], s[0:1], 0x58
	;; [unrolled: 1-line block ×3, first 2 shown]
	v_mul_u32_u24_e32 v1, 0x4ed, v0
	v_mov_b32_e32 v3, 0
	s_delay_alu instid0(VALU_DEP_2) | instskip(NEXT) | instid1(VALU_DEP_1)
	v_lshrrev_b32_e32 v1, 16, v1
	v_add_nc_u32_e32 v5, s15, v1
	v_mov_b32_e32 v1, 0
	v_mov_b32_e32 v2, 0
	;; [unrolled: 1-line block ×3, first 2 shown]
	s_waitcnt lgkmcnt(0)
	v_cmp_lt_u64_e64 s2, s[10:11], 2
	s_delay_alu instid0(VALU_DEP_1)
	s_and_b32 vcc_lo, exec_lo, s2
	s_cbranch_vccnz .LBB0_8
; %bb.1:
	s_load_b64 s[2:3], s[0:1], 0x10
	v_mov_b32_e32 v1, 0
	v_mov_b32_e32 v2, 0
	s_add_u32 s12, s18, 8
	s_addc_u32 s13, s19, 0
	s_add_u32 s14, s16, 8
	s_addc_u32 s15, s17, 0
	v_dual_mov_b32 v119, v2 :: v_dual_mov_b32 v118, v1
	s_mov_b64 s[22:23], 1
	s_waitcnt lgkmcnt(0)
	s_add_u32 s20, s2, 8
	s_addc_u32 s21, s3, 0
.LBB0_2:                                ; =>This Inner Loop Header: Depth=1
	s_load_b64 s[24:25], s[20:21], 0x0
                                        ; implicit-def: $vgpr120_vgpr121
	s_mov_b32 s2, exec_lo
	s_waitcnt lgkmcnt(0)
	v_or_b32_e32 v4, s25, v6
	s_delay_alu instid0(VALU_DEP_1)
	v_cmpx_ne_u64_e32 0, v[3:4]
	s_xor_b32 s3, exec_lo, s2
	s_cbranch_execz .LBB0_4
; %bb.3:                                ;   in Loop: Header=BB0_2 Depth=1
	v_cvt_f32_u32_e32 v4, s24
	v_cvt_f32_u32_e32 v7, s25
	s_sub_u32 s2, 0, s24
	s_subb_u32 s26, 0, s25
	s_delay_alu instid0(VALU_DEP_1) | instskip(NEXT) | instid1(VALU_DEP_1)
	v_fmac_f32_e32 v4, 0x4f800000, v7
	v_rcp_f32_e32 v4, v4
	s_waitcnt_depctr 0xfff
	v_mul_f32_e32 v4, 0x5f7ffffc, v4
	s_delay_alu instid0(VALU_DEP_1) | instskip(NEXT) | instid1(VALU_DEP_1)
	v_mul_f32_e32 v7, 0x2f800000, v4
	v_trunc_f32_e32 v7, v7
	s_delay_alu instid0(VALU_DEP_1) | instskip(SKIP_1) | instid1(VALU_DEP_2)
	v_fmac_f32_e32 v4, 0xcf800000, v7
	v_cvt_u32_f32_e32 v7, v7
	v_cvt_u32_f32_e32 v4, v4
	s_delay_alu instid0(VALU_DEP_2) | instskip(NEXT) | instid1(VALU_DEP_2)
	v_mul_lo_u32 v8, s2, v7
	v_mul_hi_u32 v9, s2, v4
	v_mul_lo_u32 v10, s26, v4
	s_delay_alu instid0(VALU_DEP_2) | instskip(SKIP_1) | instid1(VALU_DEP_2)
	v_add_nc_u32_e32 v8, v9, v8
	v_mul_lo_u32 v9, s2, v4
	v_add_nc_u32_e32 v8, v8, v10
	s_delay_alu instid0(VALU_DEP_2) | instskip(NEXT) | instid1(VALU_DEP_2)
	v_mul_hi_u32 v10, v4, v9
	v_mul_lo_u32 v11, v4, v8
	v_mul_hi_u32 v12, v4, v8
	v_mul_hi_u32 v13, v7, v9
	v_mul_lo_u32 v9, v7, v9
	v_mul_hi_u32 v14, v7, v8
	v_mul_lo_u32 v8, v7, v8
	v_add_co_u32 v10, vcc_lo, v10, v11
	v_add_co_ci_u32_e32 v11, vcc_lo, 0, v12, vcc_lo
	s_delay_alu instid0(VALU_DEP_2) | instskip(NEXT) | instid1(VALU_DEP_2)
	v_add_co_u32 v9, vcc_lo, v10, v9
	v_add_co_ci_u32_e32 v9, vcc_lo, v11, v13, vcc_lo
	v_add_co_ci_u32_e32 v10, vcc_lo, 0, v14, vcc_lo
	s_delay_alu instid0(VALU_DEP_2) | instskip(NEXT) | instid1(VALU_DEP_2)
	v_add_co_u32 v8, vcc_lo, v9, v8
	v_add_co_ci_u32_e32 v9, vcc_lo, 0, v10, vcc_lo
	s_delay_alu instid0(VALU_DEP_2) | instskip(NEXT) | instid1(VALU_DEP_2)
	v_add_co_u32 v4, vcc_lo, v4, v8
	v_add_co_ci_u32_e32 v7, vcc_lo, v7, v9, vcc_lo
	s_delay_alu instid0(VALU_DEP_2) | instskip(SKIP_1) | instid1(VALU_DEP_3)
	v_mul_hi_u32 v8, s2, v4
	v_mul_lo_u32 v10, s26, v4
	v_mul_lo_u32 v9, s2, v7
	s_delay_alu instid0(VALU_DEP_1) | instskip(SKIP_1) | instid1(VALU_DEP_2)
	v_add_nc_u32_e32 v8, v8, v9
	v_mul_lo_u32 v9, s2, v4
	v_add_nc_u32_e32 v8, v8, v10
	s_delay_alu instid0(VALU_DEP_2) | instskip(NEXT) | instid1(VALU_DEP_2)
	v_mul_hi_u32 v10, v4, v9
	v_mul_lo_u32 v11, v4, v8
	v_mul_hi_u32 v12, v4, v8
	v_mul_hi_u32 v13, v7, v9
	v_mul_lo_u32 v9, v7, v9
	v_mul_hi_u32 v14, v7, v8
	v_mul_lo_u32 v8, v7, v8
	v_add_co_u32 v10, vcc_lo, v10, v11
	v_add_co_ci_u32_e32 v11, vcc_lo, 0, v12, vcc_lo
	s_delay_alu instid0(VALU_DEP_2) | instskip(NEXT) | instid1(VALU_DEP_2)
	v_add_co_u32 v9, vcc_lo, v10, v9
	v_add_co_ci_u32_e32 v9, vcc_lo, v11, v13, vcc_lo
	v_add_co_ci_u32_e32 v10, vcc_lo, 0, v14, vcc_lo
	s_delay_alu instid0(VALU_DEP_2) | instskip(NEXT) | instid1(VALU_DEP_2)
	v_add_co_u32 v8, vcc_lo, v9, v8
	v_add_co_ci_u32_e32 v9, vcc_lo, 0, v10, vcc_lo
	s_delay_alu instid0(VALU_DEP_2) | instskip(NEXT) | instid1(VALU_DEP_2)
	v_add_co_u32 v4, vcc_lo, v4, v8
	v_add_co_ci_u32_e32 v13, vcc_lo, v7, v9, vcc_lo
	s_delay_alu instid0(VALU_DEP_2) | instskip(SKIP_1) | instid1(VALU_DEP_3)
	v_mul_hi_u32 v14, v5, v4
	v_mad_u64_u32 v[9:10], null, v6, v4, 0
	v_mad_u64_u32 v[7:8], null, v5, v13, 0
	;; [unrolled: 1-line block ×3, first 2 shown]
	s_delay_alu instid0(VALU_DEP_2) | instskip(NEXT) | instid1(VALU_DEP_3)
	v_add_co_u32 v4, vcc_lo, v14, v7
	v_add_co_ci_u32_e32 v7, vcc_lo, 0, v8, vcc_lo
	s_delay_alu instid0(VALU_DEP_2) | instskip(NEXT) | instid1(VALU_DEP_2)
	v_add_co_u32 v4, vcc_lo, v4, v9
	v_add_co_ci_u32_e32 v4, vcc_lo, v7, v10, vcc_lo
	v_add_co_ci_u32_e32 v7, vcc_lo, 0, v12, vcc_lo
	s_delay_alu instid0(VALU_DEP_2) | instskip(NEXT) | instid1(VALU_DEP_2)
	v_add_co_u32 v4, vcc_lo, v4, v11
	v_add_co_ci_u32_e32 v9, vcc_lo, 0, v7, vcc_lo
	s_delay_alu instid0(VALU_DEP_2) | instskip(SKIP_1) | instid1(VALU_DEP_3)
	v_mul_lo_u32 v10, s25, v4
	v_mad_u64_u32 v[7:8], null, s24, v4, 0
	v_mul_lo_u32 v11, s24, v9
	s_delay_alu instid0(VALU_DEP_2) | instskip(NEXT) | instid1(VALU_DEP_2)
	v_sub_co_u32 v7, vcc_lo, v5, v7
	v_add3_u32 v8, v8, v11, v10
	s_delay_alu instid0(VALU_DEP_1) | instskip(NEXT) | instid1(VALU_DEP_1)
	v_sub_nc_u32_e32 v10, v6, v8
	v_subrev_co_ci_u32_e64 v10, s2, s25, v10, vcc_lo
	v_add_co_u32 v11, s2, v4, 2
	s_delay_alu instid0(VALU_DEP_1) | instskip(SKIP_3) | instid1(VALU_DEP_3)
	v_add_co_ci_u32_e64 v12, s2, 0, v9, s2
	v_sub_co_u32 v13, s2, v7, s24
	v_sub_co_ci_u32_e32 v8, vcc_lo, v6, v8, vcc_lo
	v_subrev_co_ci_u32_e64 v10, s2, 0, v10, s2
	v_cmp_le_u32_e32 vcc_lo, s24, v13
	s_delay_alu instid0(VALU_DEP_3) | instskip(SKIP_1) | instid1(VALU_DEP_4)
	v_cmp_eq_u32_e64 s2, s25, v8
	v_cndmask_b32_e64 v13, 0, -1, vcc_lo
	v_cmp_le_u32_e32 vcc_lo, s25, v10
	v_cndmask_b32_e64 v14, 0, -1, vcc_lo
	v_cmp_le_u32_e32 vcc_lo, s24, v7
	;; [unrolled: 2-line block ×3, first 2 shown]
	v_cndmask_b32_e64 v15, 0, -1, vcc_lo
	v_cmp_eq_u32_e32 vcc_lo, s25, v10
	s_delay_alu instid0(VALU_DEP_2) | instskip(SKIP_3) | instid1(VALU_DEP_3)
	v_cndmask_b32_e64 v7, v15, v7, s2
	v_cndmask_b32_e32 v10, v14, v13, vcc_lo
	v_add_co_u32 v13, vcc_lo, v4, 1
	v_add_co_ci_u32_e32 v14, vcc_lo, 0, v9, vcc_lo
	v_cmp_ne_u32_e32 vcc_lo, 0, v10
	s_delay_alu instid0(VALU_DEP_2) | instskip(NEXT) | instid1(VALU_DEP_4)
	v_cndmask_b32_e32 v8, v14, v12, vcc_lo
	v_cndmask_b32_e32 v10, v13, v11, vcc_lo
	v_cmp_ne_u32_e32 vcc_lo, 0, v7
	s_delay_alu instid0(VALU_DEP_2)
	v_dual_cndmask_b32 v121, v9, v8 :: v_dual_cndmask_b32 v120, v4, v10
.LBB0_4:                                ;   in Loop: Header=BB0_2 Depth=1
	s_and_not1_saveexec_b32 s2, s3
	s_cbranch_execz .LBB0_6
; %bb.5:                                ;   in Loop: Header=BB0_2 Depth=1
	v_cvt_f32_u32_e32 v4, s24
	s_sub_i32 s3, 0, s24
	v_mov_b32_e32 v121, v3
	s_delay_alu instid0(VALU_DEP_2) | instskip(SKIP_2) | instid1(VALU_DEP_1)
	v_rcp_iflag_f32_e32 v4, v4
	s_waitcnt_depctr 0xfff
	v_mul_f32_e32 v4, 0x4f7ffffe, v4
	v_cvt_u32_f32_e32 v4, v4
	s_delay_alu instid0(VALU_DEP_1) | instskip(NEXT) | instid1(VALU_DEP_1)
	v_mul_lo_u32 v7, s3, v4
	v_mul_hi_u32 v7, v4, v7
	s_delay_alu instid0(VALU_DEP_1) | instskip(NEXT) | instid1(VALU_DEP_1)
	v_add_nc_u32_e32 v4, v4, v7
	v_mul_hi_u32 v4, v5, v4
	s_delay_alu instid0(VALU_DEP_1) | instskip(SKIP_1) | instid1(VALU_DEP_2)
	v_mul_lo_u32 v7, v4, s24
	v_add_nc_u32_e32 v8, 1, v4
	v_sub_nc_u32_e32 v7, v5, v7
	s_delay_alu instid0(VALU_DEP_1) | instskip(SKIP_1) | instid1(VALU_DEP_2)
	v_subrev_nc_u32_e32 v9, s24, v7
	v_cmp_le_u32_e32 vcc_lo, s24, v7
	v_dual_cndmask_b32 v7, v7, v9 :: v_dual_cndmask_b32 v4, v4, v8
	s_delay_alu instid0(VALU_DEP_1) | instskip(NEXT) | instid1(VALU_DEP_2)
	v_cmp_le_u32_e32 vcc_lo, s24, v7
	v_add_nc_u32_e32 v8, 1, v4
	s_delay_alu instid0(VALU_DEP_1)
	v_cndmask_b32_e32 v120, v4, v8, vcc_lo
.LBB0_6:                                ;   in Loop: Header=BB0_2 Depth=1
	s_or_b32 exec_lo, exec_lo, s2
	s_delay_alu instid0(VALU_DEP_1) | instskip(NEXT) | instid1(VALU_DEP_2)
	v_mul_lo_u32 v4, v121, s24
	v_mul_lo_u32 v9, v120, s25
	s_load_b64 s[2:3], s[14:15], 0x0
	v_mad_u64_u32 v[7:8], null, v120, s24, 0
	s_load_b64 s[24:25], s[12:13], 0x0
	s_add_u32 s22, s22, 1
	s_addc_u32 s23, s23, 0
	s_add_u32 s12, s12, 8
	s_addc_u32 s13, s13, 0
	s_add_u32 s14, s14, 8
	s_delay_alu instid0(VALU_DEP_1) | instskip(SKIP_3) | instid1(VALU_DEP_2)
	v_add3_u32 v4, v8, v9, v4
	v_sub_co_u32 v8, vcc_lo, v5, v7
	s_addc_u32 s15, s15, 0
	s_add_u32 s20, s20, 8
	v_sub_co_ci_u32_e32 v6, vcc_lo, v6, v4, vcc_lo
	s_addc_u32 s21, s21, 0
	s_waitcnt lgkmcnt(0)
	s_delay_alu instid0(VALU_DEP_1)
	v_mul_lo_u32 v9, s2, v6
	v_mul_lo_u32 v10, s3, v8
	v_mad_u64_u32 v[4:5], null, s2, v8, v[1:2]
	v_mul_lo_u32 v11, s24, v6
	v_mul_lo_u32 v12, s25, v8
	v_mad_u64_u32 v[6:7], null, s24, v8, v[118:119]
	v_cmp_ge_u64_e64 s2, s[22:23], s[10:11]
	v_add3_u32 v2, v10, v5, v9
	s_delay_alu instid0(VALU_DEP_3) | instskip(NEXT) | instid1(VALU_DEP_4)
	v_dual_mov_b32 v1, v4 :: v_dual_mov_b32 v118, v6
	v_add3_u32 v119, v12, v7, v11
	s_delay_alu instid0(VALU_DEP_4)
	s_and_b32 vcc_lo, exec_lo, s2
	s_cbranch_vccnz .LBB0_9
; %bb.7:                                ;   in Loop: Header=BB0_2 Depth=1
	v_dual_mov_b32 v5, v120 :: v_dual_mov_b32 v6, v121
	s_branch .LBB0_2
.LBB0_8:
	v_dual_mov_b32 v119, v2 :: v_dual_mov_b32 v118, v1
	v_dual_mov_b32 v121, v6 :: v_dual_mov_b32 v120, v5
.LBB0_9:
	s_load_b64 s[0:1], s[0:1], 0x28
	v_mul_hi_u32 v3, 0x4ec4ec5, v0
	s_lshl_b64 s[10:11], s[10:11], 3
                                        ; implicit-def: $vgpr4
                                        ; implicit-def: $vgpr116
	s_clause 0x1
	scratch_store_b64 off, v[4:5], off
	; meta instruction
	; meta instruction
	;; [unrolled: 1-line block ×10, first 2 shown]
	scratch_store_b64 off, v[4:5], off offset:8
	s_add_u32 s2, s18, s10
	s_addc_u32 s3, s19, s11
	s_waitcnt lgkmcnt(0)
	v_cmp_gt_u64_e32 vcc_lo, s[0:1], v[120:121]
	v_cmp_le_u64_e64 s0, s[0:1], v[120:121]
	s_delay_alu instid0(VALU_DEP_1) | instskip(NEXT) | instid1(SALU_CYCLE_1)
	s_and_saveexec_b32 s1, s0
	s_xor_b32 s0, exec_lo, s1
	s_cbranch_execz .LBB0_11
; %bb.10:
	v_mul_u32_u24_e32 v1, 52, v3
                                        ; implicit-def: $vgpr3
	s_delay_alu instid0(VALU_DEP_1) | instskip(NEXT) | instid1(VALU_DEP_1)
	v_sub_nc_u32_e32 v116, v0, v1
	v_add_nc_u32_e32 v0, 52, v116
	v_add_nc_u32_e32 v110, 0x68, v116
	;; [unrolled: 1-line block ×5, first 2 shown]
	scratch_store_b64 off, v[0:1], off      ; 8-byte Folded Spill
	v_add_nc_u32_e32 v107, 0x138, v116
	v_add_nc_u32_e32 v124, 0x16c, v116
	;; [unrolled: 1-line block ×6, first 2 shown]
	scratch_store_b64 off, v[0:1], off offset:8 ; 8-byte Folded Spill
                                        ; implicit-def: $vgpr0
                                        ; implicit-def: $vgpr1_vgpr2
.LBB0_11:
	s_and_not1_saveexec_b32 s1, s0
	s_cbranch_execz .LBB0_13
; %bb.12:
	s_add_u32 s10, s16, s10
	s_addc_u32 s11, s17, s11
	v_lshlrev_b64 v[1:2], 4, v[1:2]
	s_load_b64 s[10:11], s[10:11], 0x0
	s_waitcnt lgkmcnt(0)
	v_mul_lo_u32 v6, s11, v120
	v_mul_lo_u32 v7, s10, v121
	v_mad_u64_u32 v[4:5], null, s10, v120, 0
	s_delay_alu instid0(VALU_DEP_1) | instskip(SKIP_1) | instid1(VALU_DEP_2)
	v_add3_u32 v5, v5, v7, v6
	v_mul_u32_u24_e32 v6, 52, v3
	v_lshlrev_b64 v[3:4], 4, v[4:5]
	s_delay_alu instid0(VALU_DEP_2) | instskip(NEXT) | instid1(VALU_DEP_1)
	v_sub_nc_u32_e32 v116, v0, v6
	v_lshlrev_b32_e32 v96, 4, v116
	s_delay_alu instid0(VALU_DEP_3) | instskip(NEXT) | instid1(VALU_DEP_1)
	v_add_co_u32 v0, s0, s4, v3
	v_add_co_ci_u32_e64 v3, s0, s5, v4, s0
	v_add_nc_u32_e32 v97, 52, v116
	s_delay_alu instid0(VALU_DEP_3) | instskip(NEXT) | instid1(VALU_DEP_1)
	v_add_co_u32 v0, s0, v0, v1
	v_add_co_ci_u32_e64 v1, s0, v3, v2, s0
	v_or_b32_e32 v2, 0x3400, v96
	s_delay_alu instid0(VALU_DEP_3) | instskip(NEXT) | instid1(VALU_DEP_1)
	v_add_co_u32 v16, s0, v0, v96
	v_add_co_ci_u32_e64 v17, s0, 0, v1, s0
	s_delay_alu instid0(VALU_DEP_3) | instskip(NEXT) | instid1(VALU_DEP_1)
	v_add_co_u32 v64, s0, v0, v2
	v_add_co_ci_u32_e64 v65, s0, 0, v1, s0
	s_delay_alu instid0(VALU_DEP_4) | instskip(NEXT) | instid1(VALU_DEP_1)
	v_add_co_u32 v36, s0, 0x1000, v16
	v_add_co_ci_u32_e64 v37, s0, 0, v17, s0
	v_add_co_u32 v56, s0, 0x2000, v16
	s_delay_alu instid0(VALU_DEP_1) | instskip(SKIP_1) | instid1(VALU_DEP_1)
	v_add_co_ci_u32_e64 v57, s0, 0, v17, s0
	v_add_co_u32 v76, s0, 0x3000, v16
	v_add_co_ci_u32_e64 v77, s0, 0, v17, s0
	v_add_co_u32 v92, s0, 0x4000, v16
	s_delay_alu instid0(VALU_DEP_1)
	v_add_co_ci_u32_e64 v93, s0, 0, v17, s0
	s_clause 0x17
	global_load_b128 v[0:3], v[16:17], off
	global_load_b128 v[4:7], v[16:17], off offset:832
	global_load_b128 v[8:11], v[16:17], off offset:1664
	;; [unrolled: 1-line block ×15, first 2 shown]
	global_load_b128 v[64:67], v[64:65], off
	global_load_b128 v[68:71], v[76:77], off offset:1856
	global_load_b128 v[72:75], v[76:77], off offset:2688
	;; [unrolled: 1-line block ×7, first 2 shown]
	scratch_store_b64 off, v[97:98], off    ; 8-byte Folded Spill
	v_add_nc_u32_e32 v110, 0x68, v116
	v_add_nc_u32_e32 v111, 0x9c, v116
	;; [unrolled: 1-line block ×11, first 2 shown]
	scratch_store_b64 off, v[97:98], off offset:8 ; 8-byte Folded Spill
	s_waitcnt vmcnt(23)
	ds_store_b128 v96, v[0:3]
	s_waitcnt vmcnt(22)
	ds_store_b128 v96, v[4:7] offset:832
	s_waitcnt vmcnt(21)
	ds_store_b128 v96, v[8:11] offset:1664
	;; [unrolled: 2-line block ×23, first 2 shown]
.LBB0_13:
	s_or_b32 exec_lo, exec_lo, s1
	v_lshlrev_b32_e32 v101, 4, v116
	s_load_b64 s[2:3], s[2:3], 0x0
	s_waitcnt lgkmcnt(0)
	s_waitcnt_vscnt null, 0x0
	s_barrier
	buffer_gl0_inv
	v_add_nc_u32_e32 v243, 0, v101
	v_lshl_add_u32 v98, v111, 5, 0
	v_lshl_add_u32 v99, v112, 5, 0
	;; [unrolled: 1-line block ×4, first 2 shown]
	ds_load_b128 v[0:3], v243
	ds_load_b128 v[4:7], v243 offset:832
	ds_load_b128 v[8:11], v243 offset:9984
	;; [unrolled: 1-line block ×23, first 2 shown]
	scratch_load_b64 v[96:97], off, off     ; 8-byte Folded Reload
	s_waitcnt lgkmcnt(21)
	v_add_f64 v[8:9], v[0:1], -v[8:9]
	v_add_f64 v[10:11], v[2:3], -v[10:11]
	s_waitcnt lgkmcnt(20)
	v_add_f64 v[12:13], v[4:5], -v[12:13]
	v_add_f64 v[14:15], v[6:7], -v[14:15]
	;; [unrolled: 3-line block ×9, first 2 shown]
	s_waitcnt vmcnt(0)
	v_lshl_add_u32 v97, v110, 5, 0
	v_lshl_add_u32 v114, v124, 5, 0
	;; [unrolled: 1-line block ×3, first 2 shown]
	s_waitcnt lgkmcnt(4)
	v_add_f64 v[76:77], v[68:69], -v[76:77]
	v_add_f64 v[78:79], v[70:71], -v[78:79]
	s_waitcnt lgkmcnt(0)
	v_add_f64 v[92:93], v[84:85], -v[92:93]
	v_add_f64 v[94:95], v[86:87], -v[94:95]
	;; [unrolled: 1-line block ×4, first 2 shown]
	v_lshl_add_u32 v152, v144, 5, 0
	v_lshl_add_u32 v153, v145, 5, 0
	v_lshlrev_b32_e32 v117, 4, v107
	v_lshlrev_b32_e32 v125, 4, v124
	;; [unrolled: 1-line block ×3, first 2 shown]
	v_lshl_add_u32 v135, v110, 4, 0
	v_lshl_add_u32 v149, v111, 4, 0
	v_lshlrev_b32_e32 v150, 1, v116
	v_lshlrev_b32_e32 v156, 4, v109
	v_lshl_add_u32 v146, v141, 4, 0
	v_lshlrev_b32_e32 v157, 4, v144
	v_fma_f64 v[0:1], v[0:1], 2.0, -v[8:9]
	v_fma_f64 v[2:3], v[2:3], 2.0, -v[10:11]
	;; [unrolled: 1-line block ×18, first 2 shown]
	v_lshlrev_b32_e32 v115, 1, v110
	v_lshlrev_b32_e32 v122, 1, v111
	;; [unrolled: 1-line block ×3, first 2 shown]
	v_fma_f64 v[68:69], v[68:69], 2.0, -v[76:77]
	v_fma_f64 v[70:71], v[70:71], 2.0, -v[78:79]
	v_fma_f64 v[84:85], v[84:85], 2.0, -v[92:93]
	v_fma_f64 v[86:87], v[86:87], 2.0, -v[94:95]
	v_fma_f64 v[80:81], v[80:81], 2.0, -v[88:89]
	v_fma_f64 v[82:83], v[82:83], 2.0, -v[90:91]
	v_lshlrev_b32_e32 v140, 1, v109
	v_lshlrev_b32_e32 v139, 1, v124
	;; [unrolled: 1-line block ×3, first 2 shown]
	v_cmp_gt_u32_e64 s0, 44, v116
	v_mov_b32_e32 v108, v96
	scratch_store_b32 off, v101, off offset:16 ; 4-byte Folded Spill
	v_add_nc_u32_e32 v101, v243, v101
	s_waitcnt_vscnt null, 0x0
	s_barrier
	v_lshl_add_u32 v96, v108, 5, 0
	buffer_gl0_inv
	ds_store_b128 v101, v[0:3]
	ds_store_b128 v101, v[8:11] offset:16
	ds_store_b128 v96, v[4:7]
	ds_store_b128 v96, v[12:15] offset:16
	;; [unrolled: 2-line block ×9, first 2 shown]
	scratch_load_b64 v[147:148], off, off offset:8 ; 8-byte Folded Reload
	v_and_b32_e32 v20, 1, v116
	ds_store_b128 v152, v[68:71]
	ds_store_b128 v152, v[76:79] offset:16
	ds_store_b128 v153, v[80:83]
	ds_store_b128 v153, v[88:91] offset:16
	v_lshl_add_u32 v57, v108, 4, 0
	v_dual_mov_b32 v108, v110 :: v_dual_lshlrev_b32 v155, 1, v108
	v_lshlrev_b32_e32 v0, 4, v20
	s_waitcnt vmcnt(0)
	v_lshl_add_u32 v148, v112, 4, 0
	v_lshlrev_b32_e32 v158, 4, v145
	v_lshl_add_u32 v154, v147, 5, 0
	v_lshlrev_b32_e32 v159, 4, v147
	ds_store_b128 v154, v[84:87]
	ds_store_b128 v154, v[92:95] offset:16
	s_waitcnt lgkmcnt(0)
	s_barrier
	buffer_gl0_inv
	global_load_b128 v[0:3], v0, s[8:9]
	ds_load_b128 v[21:24], v243 offset:13312
	ds_load_b128 v[25:28], v243 offset:14144
	;; [unrolled: 1-line block ×11, first 2 shown]
	ds_load_b128 v[49:52], v243
	ds_load_b128 v[53:56], v243 offset:19136
	scratch_store_b64 off, v[108:109], off offset:72 ; 8-byte Folded Spill
	v_mov_b32_e32 v108, v111
	v_sub_nc_u32_e32 v142, v113, v117
	scratch_store_b64 off, v[108:109], off offset:80 ; 8-byte Folded Spill
	v_mov_b32_e32 v108, v112
	scratch_store_b64 off, v[108:109], off offset:88 ; 8-byte Folded Spill
	v_dual_mov_b32 v108, v107 :: v_dual_mov_b32 v107, v109
	v_sub_nc_u32_e32 v143, v114, v125
	s_clause 0x2
	scratch_store_b64 off, v[108:109], off offset:20
	scratch_store_b64 off, v[107:108], off offset:28
	scratch_store_b32 off, v57, off offset:68
	ds_load_b128 v[57:60], v57
	s_clause 0x3
	scratch_store_b32 off, v113, off offset:104
	scratch_store_b32 off, v117, off offset:132
	;; [unrolled: 1-line block ×4, first 2 shown]
	s_waitcnt vmcnt(0) lgkmcnt(12)
	v_mul_f64 v[81:82], v[27:28], v[2:3]
	v_mul_f64 v[83:84], v[25:26], v[2:3]
	;; [unrolled: 1-line block ×4, first 2 shown]
	s_waitcnt lgkmcnt(7)
	v_mul_f64 v[87:88], v[29:30], v[2:3]
	s_waitcnt lgkmcnt(6)
	v_mul_f64 v[89:90], v[35:36], v[2:3]
	v_mul_f64 v[91:92], v[33:34], v[2:3]
	s_waitcnt lgkmcnt(5)
	v_mul_f64 v[93:94], v[39:40], v[2:3]
	;; [unrolled: 3-line block ×3, first 2 shown]
	v_mul_f64 v[99:100], v[41:42], v[2:3]
	v_mul_f64 v[61:62], v[6:7], v[2:3]
	;; [unrolled: 1-line block ×9, first 2 shown]
	s_waitcnt lgkmcnt(3)
	v_mul_f64 v[101:102], v[47:48], v[2:3]
	v_mul_f64 v[103:104], v[45:46], v[2:3]
	;; [unrolled: 1-line block ×3, first 2 shown]
	s_waitcnt lgkmcnt(1)
	v_mul_f64 v[105:106], v[55:56], v[2:3]
	v_mul_f64 v[2:3], v[53:54], v[2:3]
	v_fma_f64 v[25:26], v[25:26], v[0:1], -v[81:82]
	v_fma_f64 v[27:28], v[27:28], v[0:1], v[83:84]
	v_fma_f64 v[107:108], v[21:22], v[0:1], -v[77:78]
	v_fma_f64 v[109:110], v[23:24], v[0:1], v[79:80]
	v_fma_f64 v[111:112], v[31:32], v[0:1], v[87:88]
	v_fma_f64 v[113:114], v[33:34], v[0:1], -v[89:90]
	v_fma_f64 v[125:126], v[35:36], v[0:1], v[91:92]
	ds_load_b128 v[21:24], v135
	ds_load_b128 v[32:35], v149
	s_clause 0x1
	scratch_store_b32 off, v151, off offset:108
	scratch_store_b32 off, v156, off offset:136
	v_fma_f64 v[127:128], v[37:38], v[0:1], -v[93:94]
	v_fma_f64 v[129:130], v[39:40], v[0:1], v[95:96]
	scratch_store_b32 off, v148, off offset:56 ; 4-byte Folded Spill
	ds_load_b128 v[36:39], v148
	s_clause 0x1
	scratch_store_b32 off, v152, off offset:112
	scratch_store_b32 off, v157, off offset:140
	v_fma_f64 v[131:132], v[41:42], v[0:1], -v[97:98]
	v_fma_f64 v[133:134], v[43:44], v[0:1], v[99:100]
	ds_load_b128 v[40:43], v146
	v_fma_f64 v[4:5], v[4:5], v[0:1], -v[61:62]
	v_fma_f64 v[6:7], v[6:7], v[0:1], v[63:64]
	v_fma_f64 v[8:9], v[8:9], v[0:1], -v[65:66]
	v_fma_f64 v[10:11], v[10:11], v[0:1], v[67:68]
	;; [unrolled: 2-line block ×5, first 2 shown]
	v_fma_f64 v[29:30], v[29:30], v[0:1], -v[85:86]
	v_fma_f64 v[105:106], v[53:54], v[0:1], -v[105:106]
	v_fma_f64 v[135:136], v[55:56], v[0:1], v[2:3]
	v_mov_b32_e32 v31, v144
	v_sub_nc_u32_e32 v1, v152, v157
	s_clause 0x2
	scratch_store_b32 off, v146, off offset:52
	scratch_store_b32 off, v153, off offset:116
	;; [unrolled: 1-line block ×3, first 2 shown]
	v_sub_nc_u32_e32 v2, v153, v158
	ds_load_b128 v[44:47], v142
	s_clause 0x1
	scratch_store_b32 off, v154, off offset:120
	scratch_store_b32 off, v159, off offset:148
	s_waitcnt lgkmcnt(1)
	v_add_f64 v[97:98], v[40:41], -v[25:26]
	v_add_f64 v[99:100], v[42:43], -v[27:28]
	v_mov_b32_e32 v25, v145
	v_mov_b32_e32 v27, v150
	v_sub_nc_u32_e32 v0, v151, v156
	v_sub_nc_u32_e32 v3, v154, v159
	ds_load_b128 v[53:56], v143
	scratch_store_b64 off, v[31:32], off offset:36 ; 8-byte Folded Spill
	ds_load_b128 v[61:64], v0
	ds_load_b128 v[65:68], v1
	;; [unrolled: 1-line block ×4, first 2 shown]
	v_add_f64 v[93:94], v[36:37], -v[107:108]
	v_add_f64 v[95:96], v[38:39], -v[109:110]
	v_lshlrev_b32_e32 v48, 1, v144
	v_add_f64 v[77:78], v[49:50], -v[4:5]
	v_add_f64 v[79:80], v[51:52], -v[6:7]
	;; [unrolled: 1-line block ×8, first 2 shown]
	s_waitcnt lgkmcnt(4)
	v_add_f64 v[4:5], v[53:54], -v[113:114]
	v_add_f64 v[6:7], v[55:56], -v[125:126]
	s_waitcnt lgkmcnt(3)
	v_add_f64 v[8:9], v[61:62], -v[127:128]
	v_add_f64 v[10:11], v[63:64], -v[129:130]
	;; [unrolled: 3-line block ×4, first 2 shown]
	v_add_f64 v[0:1], v[44:45], -v[29:30]
	s_waitcnt lgkmcnt(0)
	v_add_f64 v[28:29], v[73:74], -v[105:106]
	v_add_f64 v[30:31], v[75:76], -v[135:136]
	;; [unrolled: 1-line block ×3, first 2 shown]
	v_mov_b32_e32 v101, v155
	v_and_or_b32 v128, 0x7fc, v48, v20
	scratch_store_b64 off, v[25:26], off offset:44 ; 8-byte Folded Spill
	v_lshlrev_b32_e32 v25, 1, v145
	v_lshlrev_b32_e32 v26, 1, v147
	v_fma_f64 v[145:146], v[40:41], 2.0, -v[97:98]
	v_fma_f64 v[147:148], v[42:43], 2.0, -v[99:100]
	v_and_or_b32 v126, 0x3fc, v139, v20
	v_and_or_b32 v127, 0x3fc, v140, v20
	;; [unrolled: 1-line block ×3, first 2 shown]
	v_fma_f64 v[109:110], v[36:37], 2.0, -v[93:94]
	v_fma_f64 v[111:112], v[38:39], 2.0, -v[95:96]
	v_and_or_b32 v25, 0x4fc, v25, v20
	v_and_or_b32 v114, 0x1fc, v115, v20
	;; [unrolled: 1-line block ×6, first 2 shown]
	v_fma_f64 v[48:49], v[49:50], 2.0, -v[77:78]
	v_fma_f64 v[50:51], v[51:52], 2.0, -v[79:80]
	;; [unrolled: 1-line block ×4, first 2 shown]
	scratch_store_b64 off, v[101:102], off offset:124 ; 8-byte Folded Spill
	v_fma_f64 v[101:102], v[21:22], 2.0, -v[85:86]
	v_fma_f64 v[103:104], v[23:24], 2.0, -v[87:88]
	;; [unrolled: 1-line block ×12, first 2 shown]
	scratch_store_b64 off, v[27:28], off offset:96 ; 8-byte Folded Spill
	v_fma_f64 v[40:41], v[73:74], 2.0, -v[28:29]
	v_fma_f64 v[42:43], v[75:76], 2.0, -v[30:31]
	;; [unrolled: 1-line block ×4, first 2 shown]
	v_and_or_b32 v27, 0x7c, v150, v20
	v_and_or_b32 v20, 0x4fc, v26, v20
	v_lshl_add_u32 v33, v126, 4, 0
	v_lshl_add_u32 v34, v127, 4, 0
	;; [unrolled: 1-line block ×12, first 2 shown]
	s_waitcnt_vscnt null, 0x0
	s_barrier
	buffer_gl0_inv
	ds_store_b128 v21, v[48:51]
	ds_store_b128 v21, v[77:80] offset:32
	ds_store_b128 v22, v[57:60]
	ds_store_b128 v22, v[81:84] offset:32
	;; [unrolled: 2-line block ×7, first 2 shown]
	scratch_store_b128 off, v[129:132], off offset:168 ; 16-byte Folded Spill
	ds_store_b128 v33, v[129:132]
	ds_store_b128 v33, v[4:7] offset:32
	scratch_store_b128 off, v[52:55], off offset:152 ; 16-byte Folded Spill
	ds_store_b128 v34, v[52:55]
	ds_store_b128 v34, v[8:11] offset:32
	;; [unrolled: 3-line block ×3, first 2 shown]
	ds_store_b128 v25, v[36:39]
	ds_store_b128 v25, v[16:19] offset:32
	ds_store_b128 v20, v[40:43]
	ds_store_b128 v20, v[28:31] offset:32
	s_waitcnt lgkmcnt(0)
	s_waitcnt_vscnt null, 0x0
	s_barrier
	buffer_gl0_inv
	ds_load_b128 v[100:103], v243
	ds_load_b128 v[56:59], v243 offset:1536
	ds_load_b128 v[68:71], v243 offset:3072
	;; [unrolled: 1-line block ×12, first 2 shown]
                                        ; implicit-def: $vgpr20_vgpr21
	s_clause 0x1
	scratch_store_b128 off, v[18:21], off offset:216
	; meta instruction
	scratch_store_b128 off, v[18:21], off offset:200
	s_and_saveexec_b32 s1, s0
	s_cbranch_execz .LBB0_15
; %bb.14:
	scratch_load_b64 v[0:1], off, off       ; 8-byte Folded Reload
	s_waitcnt vmcnt(0)
	v_lshl_add_u32 v0, v0, 4, 0
	ds_load_b128 v[0:3], v0
	ds_load_b128 v[4:7], v243 offset:2368
	s_waitcnt lgkmcnt(0)
	scratch_store_b128 off, v[4:7], off offset:168 ; 16-byte Folded Spill
	ds_load_b128 v[4:7], v243 offset:3904
	ds_load_b128 v[8:11], v243 offset:5440
	s_waitcnt lgkmcnt(0)
	scratch_store_b128 off, v[8:11], off offset:152 ; 16-byte Folded Spill
	ds_load_b128 v[8:11], v243 offset:6976
	;; [unrolled: 4-line block ×3, first 2 shown]
	ds_load_b128 v[36:39], v243 offset:11584
	ds_load_b128 v[16:19], v243 offset:13120
	;; [unrolled: 1-line block ×5, first 2 shown]
	s_waitcnt lgkmcnt(0)
	scratch_store_b128 off, v[20:23], off offset:200 ; 16-byte Folded Spill
	ds_load_b128 v[20:23], v243 offset:19264
	s_waitcnt lgkmcnt(0)
	scratch_store_b128 off, v[20:23], off offset:216 ; 16-byte Folded Spill
.LBB0_15:
	s_or_b32 exec_lo, exec_lo, s1
	v_and_b32_e32 v117, 3, v116
	s_mov_b32 s28, 0x4267c47c
	s_mov_b32 s26, 0x42a4c3d2
	;; [unrolled: 1-line block ×4, first 2 shown]
	v_mul_u32_u24_e32 v20, 12, v117
	s_mov_b32 s20, 0x24c2f84
	s_mov_b32 s18, 0x4bc48dbf
	;; [unrolled: 1-line block ×4, first 2 shown]
	v_lshlrev_b32_e32 v20, 4, v20
	s_mov_b32 s25, 0xbfefc445
	s_mov_b32 s23, 0xbfedeba7
	;; [unrolled: 1-line block ×4, first 2 shown]
	s_clause 0x1
	global_load_b128 v[52:55], v20, s[8:9] offset:32
	global_load_b128 v[60:63], v20, s[8:9] offset:48
	s_mov_b32 s30, 0xe00740e9
	s_mov_b32 s16, 0x1ea71119
	;; [unrolled: 1-line block ×24, first 2 shown]
	s_waitcnt vmcnt(1) lgkmcnt(11)
	v_mul_f64 v[64:65], v[56:57], v[54:55]
	s_delay_alu instid0(VALU_DEP_1) | instskip(SKIP_1) | instid1(VALU_DEP_1)
	v_fma_f64 v[125:126], v[58:59], v[52:53], v[64:65]
	v_mul_f64 v[58:59], v[58:59], v[54:55]
	v_fma_f64 v[127:128], v[56:57], v[52:53], -v[58:59]
	s_clause 0x1
	global_load_b128 v[56:59], v20, s[8:9] offset:208
	global_load_b128 v[64:67], v20, s[8:9] offset:192
	s_waitcnt vmcnt(1) lgkmcnt(0)
	v_mul_f64 v[129:130], v[72:73], v[58:59]
	s_delay_alu instid0(VALU_DEP_1) | instskip(SKIP_1) | instid1(VALU_DEP_2)
	v_fma_f64 v[21:22], v[74:75], v[56:57], v[129:130]
	v_mul_f64 v[74:75], v[74:75], v[58:59]
	v_add_f64 v[205:206], v[125:126], v[21:22]
	s_delay_alu instid0(VALU_DEP_2) | instskip(SKIP_1) | instid1(VALU_DEP_2)
	v_fma_f64 v[23:24], v[72:73], v[56:57], -v[74:75]
	v_mul_f64 v[72:73], v[70:71], v[62:63]
	v_add_f64 v[181:182], v[127:128], v[23:24]
	s_delay_alu instid0(VALU_DEP_2) | instskip(SKIP_1) | instid1(VALU_DEP_1)
	v_fma_f64 v[25:26], v[68:69], v[60:61], -v[72:73]
	v_mul_f64 v[68:69], v[68:69], v[62:63]
	v_fma_f64 v[32:33], v[70:71], v[60:61], v[68:69]
	s_clause 0x1
	global_load_b128 v[68:71], v20, s[8:9] offset:64
	global_load_b128 v[72:75], v20, s[8:9] offset:80
	s_waitcnt vmcnt(1)
	v_mul_f64 v[129:130], v[94:95], v[70:71]
	s_delay_alu instid0(VALU_DEP_1) | instskip(SKIP_1) | instid1(VALU_DEP_1)
	v_fma_f64 v[34:35], v[92:93], v[68:69], -v[129:130]
	v_mul_f64 v[92:93], v[92:93], v[70:71]
	v_fma_f64 v[44:45], v[94:95], v[68:69], v[92:93]
	s_waitcnt vmcnt(0)
	v_mul_f64 v[92:93], v[78:79], v[74:75]
	s_delay_alu instid0(VALU_DEP_1) | instskip(SKIP_1) | instid1(VALU_DEP_1)
	v_fma_f64 v[50:51], v[76:77], v[72:73], -v[92:93]
	v_mul_f64 v[76:77], v[76:77], v[74:75]
	v_fma_f64 v[48:49], v[78:79], v[72:73], v[76:77]
	s_clause 0x1
	global_load_b128 v[76:79], v20, s[8:9] offset:96
	global_load_b128 v[92:95], v20, s[8:9] offset:112
	s_waitcnt vmcnt(1)
	v_mul_f64 v[129:130], v[98:99], v[78:79]
	s_delay_alu instid0(VALU_DEP_1) | instskip(SKIP_1) | instid1(VALU_DEP_1)
	v_fma_f64 v[148:149], v[96:97], v[76:77], -v[129:130]
	v_mul_f64 v[96:97], v[96:97], v[78:79]
	v_fma_f64 v[150:151], v[98:99], v[76:77], v[96:97]
	s_waitcnt vmcnt(0)
	v_mul_f64 v[96:97], v[86:87], v[94:95]
	s_delay_alu instid0(VALU_DEP_1) | instskip(SKIP_1) | instid1(VALU_DEP_1)
	v_fma_f64 v[152:153], v[84:85], v[92:93], -v[96:97]
	v_mul_f64 v[84:85], v[84:85], v[94:95]
	v_fma_f64 v[154:155], v[86:87], v[92:93], v[84:85]
	s_clause 0x1
	global_load_b128 v[96:99], v20, s[8:9] offset:128
	global_load_b128 v[84:87], v20, s[8:9] offset:144
	s_waitcnt vmcnt(1)
	v_mul_f64 v[129:130], v[90:91], v[98:99]
	s_delay_alu instid0(VALU_DEP_1) | instskip(SKIP_1) | instid1(VALU_DEP_1)
	v_fma_f64 v[156:157], v[88:89], v[96:97], -v[129:130]
	v_mul_f64 v[88:89], v[88:89], v[98:99]
	v_fma_f64 v[158:159], v[90:91], v[96:97], v[88:89]
	s_waitcnt vmcnt(0)
	v_mul_f64 v[88:89], v[82:83], v[86:87]
	s_delay_alu instid0(VALU_DEP_1) | instskip(SKIP_1) | instid1(VALU_DEP_2)
	v_fma_f64 v[160:161], v[80:81], v[84:85], -v[88:89]
	v_mul_f64 v[80:81], v[80:81], v[86:87]
	v_add_f64 v[235:236], v[148:149], v[160:161]
	s_delay_alu instid0(VALU_DEP_2)
	v_fma_f64 v[162:163], v[82:83], v[84:85], v[80:81]
	s_clause 0x1
	global_load_b128 v[88:91], v20, s[8:9] offset:160
	global_load_b128 v[80:83], v20, s[8:9] offset:176
	s_clause 0x4
	scratch_store_b64 off, v[21:22], off offset:240
	scratch_store_b64 off, v[25:26], off offset:280
	;; [unrolled: 1-line block ×5, first 2 shown]
	v_add_f64 v[241:242], v[150:151], -v[162:163]
	v_add_f64 v[239:240], v[150:151], v[162:163]
	s_delay_alu instid0(VALU_DEP_2) | instskip(SKIP_2) | instid1(VALU_DEP_1)
	v_mul_f64 v[237:238], v[241:242], s[20:21]
	s_waitcnt vmcnt(1)
	v_mul_f64 v[129:130], v[114:115], v[90:91]
	v_fma_f64 v[139:140], v[112:113], v[88:89], -v[129:130]
	v_mul_f64 v[112:113], v[112:113], v[90:91]
	s_delay_alu instid0(VALU_DEP_1) | instskip(SKIP_2) | instid1(VALU_DEP_1)
	v_fma_f64 v[146:147], v[114:115], v[88:89], v[112:113]
	s_waitcnt vmcnt(0)
	v_mul_f64 v[114:115], v[110:111], v[82:83]
	v_fma_f64 v[144:145], v[108:109], v[80:81], -v[114:115]
	v_mul_f64 v[108:109], v[108:109], v[82:83]
	s_delay_alu instid0(VALU_DEP_1) | instskip(SKIP_1) | instid1(VALU_DEP_1)
	v_fma_f64 v[137:138], v[110:111], v[80:81], v[108:109]
	v_mul_f64 v[110:111], v[106:107], v[66:67]
	v_fma_f64 v[114:115], v[104:105], v[64:65], -v[110:111]
	v_mul_f64 v[104:105], v[104:105], v[66:67]
	s_delay_alu instid0(VALU_DEP_2) | instskip(NEXT) | instid1(VALU_DEP_2)
	v_add_f64 v[233:234], v[25:26], -v[114:115]
	v_fma_f64 v[112:113], v[106:107], v[64:65], v[104:105]
	v_add_f64 v[104:105], v[125:126], -v[21:22]
	v_add_f64 v[20:21], v[100:101], v[127:128]
	s_delay_alu instid0(VALU_DEP_4) | instskip(NEXT) | instid1(VALU_DEP_3)
	v_mul_f64 v[171:172], v[233:234], s[34:35]
	v_mul_f64 v[106:107], v[104:105], s[28:29]
	;; [unrolled: 1-line block ×7, first 2 shown]
	scratch_store_b64 off, v[20:21], off offset:248 ; 8-byte Folded Spill
	v_add_f64 v[20:21], v[102:103], v[125:126]
	v_fma_f64 v[185:186], v[181:182], s[30:31], -v[106:107]
	v_fma_f64 v[106:107], v[181:182], s[30:31], v[106:107]
	v_fma_f64 v[189:190], v[181:182], s[16:17], -v[129:130]
	v_fma_f64 v[129:130], v[181:182], s[16:17], v[129:130]
	;; [unrolled: 2-line block ×6, first 2 shown]
	v_add_f64 v[181:182], v[127:128], -v[23:24]
	scratch_store_b64 off, v[20:21], off offset:256 ; 8-byte Folded Spill
	v_dual_mov_b32 v22, v48 :: v_dual_mov_b32 v23, v49
	s_delay_alu instid0(VALU_DEP_1)
	v_add_f64 v[48:49], v[22:23], -v[146:147]
	scratch_store_b64 off, v[22:23], off offset:384 ; 8-byte Folded Spill
	v_add_f64 v[125:126], v[100:101], v[185:186]
	v_add_f64 v[20:21], v[100:101], v[106:107]
	;; [unrolled: 1-line block ×6, first 2 shown]
	v_mul_f64 v[24:25], v[241:242], s[40:41]
	v_add_f64 v[231:232], v[100:101], v[199:200]
	v_dual_mov_b32 v200, v155 :: v_dual_mov_b32 v199, v154
	v_mul_f64 v[183:184], v[181:182], s[28:29]
	v_mul_f64 v[193:194], v[181:182], s[24:25]
	;; [unrolled: 1-line block ×7, first 2 shown]
	scratch_store_b64 off, v[20:21], off offset:264 ; 8-byte Folded Spill
	v_fma_f64 v[26:27], v[235:236], s[4:5], -v[24:25]
	v_fma_f64 v[24:25], v[235:236], s[4:5], v[24:25]
	v_fma_f64 v[209:210], v[205:206], s[30:31], -v[183:184]
	v_fma_f64 v[217:218], v[205:206], s[14:15], -v[193:194]
	v_fma_f64 v[219:220], v[205:206], s[12:13], v[201:202]
	v_fma_f64 v[201:202], v[205:206], s[12:13], -v[201:202]
	v_fma_f64 v[207:208], v[205:206], s[30:31], v[183:184]
	;; [unrolled: 2-line block ×4, first 2 shown]
	v_fma_f64 v[221:222], v[205:206], s[10:11], v[203:204]
	v_fma_f64 v[225:226], v[205:206], s[4:5], v[181:182]
	v_fma_f64 v[227:228], v[205:206], s[4:5], -v[181:182]
	v_add_f64 v[20:21], v[102:103], v[209:210]
	v_add_f64 v[122:123], v[102:103], v[219:220]
	;; [unrolled: 1-line block ×4, first 2 shown]
	v_add_f64 v[135:136], v[32:33], -v[112:113]
	v_add_f64 v[244:245], v[102:103], v[211:212]
	v_add_f64 v[211:212], v[100:101], v[104:105]
	;; [unrolled: 1-line block ×9, first 2 shown]
	scratch_store_b64 off, v[20:21], off offset:272 ; 8-byte Folded Spill
	v_add_f64 v[20:21], v[100:101], v[131:132]
	v_add_f64 v[131:132], v[100:101], v[195:196]
	v_dual_mov_b32 v196, v153 :: v_dual_mov_b32 v195, v152
	v_mul_f64 v[169:170], v[135:136], s[34:35]
	s_delay_alu instid0(VALU_DEP_2)
	v_add_f64 v[153:154], v[195:196], -v[156:157]
	scratch_store_b64 off, v[20:21], off offset:304 ; 8-byte Folded Spill
	v_add_f64 v[20:21], v[102:103], v[217:218]
	v_mul_f64 v[167:168], v[153:154], s[20:21]
	scratch_store_b64 off, v[20:21], off offset:296 ; 8-byte Folded Spill
	v_add_f64 v[20:21], v[100:101], v[133:134]
	v_add_f64 v[133:134], v[100:101], v[197:198]
	v_add_f64 v[197:198], v[32:33], v[112:113]
	scratch_store_b64 off, v[20:21], off offset:336 ; 8-byte Folded Spill
	v_add_f64 v[20:21], v[102:103], v[201:202]
	scratch_store_b64 off, v[20:21], off offset:328 ; 8-byte Folded Spill
	v_add_f64 v[20:21], v[102:103], v[223:224]
	v_mul_f64 v[223:224], v[48:49], s[22:23]
	scratch_store_b64 off, v[20:21], off offset:344 ; 8-byte Folded Spill
	v_mul_f64 v[20:21], v[135:136], s[26:27]
	scratch_store_b64 off, v[20:21], off offset:312 ; 8-byte Folded Spill
	v_fma_f64 v[100:101], v[191:192], s[16:17], -v[20:21]
	v_mul_f64 v[20:21], v[233:234], s[26:27]
	s_delay_alu instid0(VALU_DEP_2) | instskip(SKIP_4) | instid1(VALU_DEP_2)
	v_add_f64 v[100:101], v[100:101], v[125:126]
	scratch_store_b64 off, v[20:21], off offset:320 ; 8-byte Folded Spill
	v_fma_f64 v[102:103], v[197:198], s[16:17], v[20:21]
	v_dual_mov_b32 v20, v44 :: v_dual_mov_b32 v21, v45
	v_add_f64 v[44:45], v[34:35], -v[144:145]
	v_add_f64 v[248:249], v[20:21], -v[137:138]
	scratch_store_b64 off, v[20:21], off offset:360 ; 8-byte Folded Spill
	v_add_f64 v[217:218], v[20:21], v[137:138]
	v_dual_mov_b32 v20, v50 :: v_dual_mov_b32 v21, v51
	s_clause 0x1
	scratch_store_b64 off, v[20:21], off offset:376
	scratch_store_b64 off, v[139:140], off offset:368
	v_add_f64 v[221:222], v[20:21], v[139:140]
	v_add_f64 v[139:140], v[20:21], -v[139:140]
	v_add_f64 v[20:21], v[148:149], -v[160:161]
	s_clause 0x3
	scratch_store_b64 off, v[150:151], off offset:416
	scratch_store_b64 off, v[162:163], off offset:400
	;; [unrolled: 1-line block ×4, first 2 shown]
	v_add_f64 v[149:150], v[199:200], -v[158:159]
	v_add_f64 v[151:152], v[195:196], v[156:157]
	s_clause 0x1
	scratch_store_b64 off, v[158:159], off offset:432
	scratch_store_b64 off, v[156:157], off offset:424
	v_add_f64 v[155:156], v[199:200], v[158:159]
	v_mul_f64 v[157:158], v[48:49], s[34:35]
	v_mul_f64 v[161:162], v[241:242], s[36:37]
	v_add_f64 v[102:103], v[102:103], v[127:128]
	v_mul_f64 v[219:220], v[44:45], s[24:25]
	v_mul_f64 v[175:176], v[44:45], s[44:45]
	;; [unrolled: 1-line block ×5, first 2 shown]
	v_fma_f64 v[50:51], v[221:222], s[12:13], -v[223:224]
	v_mul_f64 v[227:228], v[139:140], s[22:23]
	v_mul_f64 v[110:111], v[20:21], s[20:21]
	;; [unrolled: 1-line block ×9, first 2 shown]
	v_fma_f64 v[46:47], v[217:218], s[14:15], v[219:220]
	v_fma_f64 v[104:105], v[213:214], s[14:15], -v[215:216]
	s_delay_alu instid0(VALU_DEP_3) | instskip(NEXT) | instid1(VALU_DEP_3)
	v_fma_f64 v[34:35], v[239:240], s[4:5], v[32:33]
	v_add_f64 v[46:47], v[46:47], v[102:103]
	v_fma_f64 v[102:103], v[239:240], s[10:11], v[110:111]
	s_delay_alu instid0(VALU_DEP_4) | instskip(NEXT) | instid1(VALU_DEP_1)
	v_add_f64 v[100:101], v[104:105], v[100:101]
	v_add_f64 v[50:51], v[50:51], v[100:101]
	v_fma_f64 v[100:101], v[225:226], s[12:13], v[227:228]
	s_delay_alu instid0(VALU_DEP_1) | instskip(SKIP_1) | instid1(VALU_DEP_2)
	v_add_f64 v[46:47], v[100:101], v[46:47]
	v_fma_f64 v[100:101], v[235:236], s[10:11], -v[237:238]
	v_add_f64 v[46:47], v[102:103], v[46:47]
	s_delay_alu instid0(VALU_DEP_2) | instskip(SKIP_2) | instid1(VALU_DEP_2)
	v_add_f64 v[100:101], v[100:101], v[50:51]
	v_fma_f64 v[102:103], v[151:152], s[4:5], -v[108:109]
	v_mul_f64 v[50:51], v[153:154], s[18:19]
	v_add_f64 v[100:101], v[102:103], v[100:101]
	s_delay_alu instid0(VALU_DEP_2) | instskip(NEXT) | instid1(VALU_DEP_1)
	v_fma_f64 v[102:103], v[155:156], s[4:5], v[50:51]
	v_add_f64 v[102:103], v[102:103], v[46:47]
	v_mul_f64 v[46:47], v[135:136], s[22:23]
	s_delay_alu instid0(VALU_DEP_1) | instskip(SKIP_1) | instid1(VALU_DEP_2)
	v_fma_f64 v[104:105], v[191:192], s[12:13], -v[46:47]
	v_fma_f64 v[46:47], v[191:192], s[12:13], v[46:47]
	v_add_f64 v[104:105], v[104:105], v[106:107]
	v_mul_f64 v[106:107], v[233:234], s[22:23]
	s_delay_alu instid0(VALU_DEP_3) | instskip(NEXT) | instid1(VALU_DEP_2)
	v_add_f64 v[46:47], v[46:47], v[129:130]
	v_fma_f64 v[125:126], v[197:198], s[12:13], v[106:107]
	v_fma_f64 v[106:107], v[197:198], s[12:13], -v[106:107]
	s_delay_alu instid0(VALU_DEP_2) | instskip(SKIP_1) | instid1(VALU_DEP_3)
	v_add_f64 v[125:126], v[125:126], v[244:245]
	v_fma_f64 v[244:245], v[213:214], s[4:5], -v[127:128]
	v_add_f64 v[106:107], v[106:107], v[246:247]
	s_delay_alu instid0(VALU_DEP_2) | instskip(SKIP_1) | instid1(VALU_DEP_1)
	v_add_f64 v[104:105], v[244:245], v[104:105]
	v_mul_f64 v[244:245], v[44:45], s[18:19]
	v_fma_f64 v[252:253], v[217:218], s[4:5], v[244:245]
	s_delay_alu instid0(VALU_DEP_1) | instskip(SKIP_1) | instid1(VALU_DEP_1)
	v_add_f64 v[125:126], v[252:253], v[125:126]
	v_fma_f64 v[252:253], v[221:222], s[10:11], -v[157:158]
	v_add_f64 v[104:105], v[252:253], v[104:105]
	v_fma_f64 v[252:253], v[225:226], s[10:11], v[159:160]
	s_delay_alu instid0(VALU_DEP_1) | instskip(SKIP_1) | instid1(VALU_DEP_1)
	v_add_f64 v[125:126], v[252:253], v[125:126]
	v_fma_f64 v[252:253], v[235:236], s[14:15], -v[161:162]
	v_add_f64 v[104:105], v[252:253], v[104:105]
	;; [unrolled: 5-line block ×3, first 2 shown]
	v_mul_f64 v[104:105], v[153:154], s[44:45]
	s_delay_alu instid0(VALU_DEP_1) | instskip(NEXT) | instid1(VALU_DEP_1)
	v_fma_f64 v[254:255], v[155:156], s[30:31], v[104:105]
	v_add_f64 v[254:255], v[254:255], v[125:126]
	v_fma_f64 v[125:126], v[213:214], s[4:5], v[127:128]
	v_fma_f64 v[127:128], v[155:156], s[30:31], -v[104:105]
	s_delay_alu instid0(VALU_DEP_2) | instskip(SKIP_1) | instid1(VALU_DEP_1)
	v_add_f64 v[46:47], v[125:126], v[46:47]
	v_fma_f64 v[125:126], v[217:218], s[4:5], -v[244:245]
	v_add_f64 v[106:107], v[125:126], v[106:107]
	v_fma_f64 v[125:126], v[221:222], s[10:11], v[157:158]
	v_mul_f64 v[157:158], v[248:249], s[38:39]
	s_delay_alu instid0(VALU_DEP_2) | instskip(SKIP_1) | instid1(VALU_DEP_3)
	v_add_f64 v[46:47], v[125:126], v[46:47]
	v_fma_f64 v[125:126], v[225:226], s[10:11], -v[159:160]
	v_fma_f64 v[129:130], v[213:214], s[12:13], -v[157:158]
	v_mul_f64 v[159:160], v[44:45], s[38:39]
	s_delay_alu instid0(VALU_DEP_3) | instskip(SKIP_2) | instid1(VALU_DEP_2)
	v_add_f64 v[106:107], v[125:126], v[106:107]
	v_fma_f64 v[125:126], v[235:236], s[14:15], v[161:162]
	v_mul_f64 v[161:162], v[48:49], s[44:45]
	v_add_f64 v[46:47], v[125:126], v[46:47]
	v_fma_f64 v[125:126], v[239:240], s[14:15], -v[163:164]
	v_mul_f64 v[163:164], v[139:140], s[44:45]
	s_delay_alu instid0(VALU_DEP_2) | instskip(SKIP_2) | instid1(VALU_DEP_3)
	v_add_f64 v[106:107], v[125:126], v[106:107]
	v_fma_f64 v[125:126], v[151:152], s[30:31], v[165:166]
	v_mul_f64 v[165:166], v[241:242], s[26:27]
	v_add_f64 v[106:107], v[127:128], v[106:107]
	s_delay_alu instid0(VALU_DEP_3) | instskip(SKIP_1) | instid1(VALU_DEP_1)
	v_add_f64 v[104:105], v[125:126], v[46:47]
	v_mul_f64 v[46:47], v[135:136], s[18:19]
	v_fma_f64 v[125:126], v[191:192], s[4:5], -v[46:47]
	s_delay_alu instid0(VALU_DEP_1) | instskip(SKIP_1) | instid1(VALU_DEP_2)
	v_add_f64 v[125:126], v[125:126], v[142:143]
	v_mul_f64 v[142:143], v[233:234], s[18:19]
	v_add_f64 v[125:126], v[129:130], v[125:126]
	s_delay_alu instid0(VALU_DEP_2) | instskip(SKIP_1) | instid1(VALU_DEP_2)
	v_fma_f64 v[127:128], v[197:198], s[4:5], v[142:143]
	v_fma_f64 v[129:130], v[217:218], s[12:13], v[159:160]
	v_add_f64 v[127:128], v[127:128], v[250:251]
	v_mul_f64 v[250:251], v[20:21], s[26:27]
	s_delay_alu instid0(VALU_DEP_2) | instskip(SKIP_1) | instid1(VALU_DEP_1)
	v_add_f64 v[127:128], v[129:130], v[127:128]
	v_fma_f64 v[129:130], v[221:222], s[30:31], -v[161:162]
	v_add_f64 v[125:126], v[129:130], v[125:126]
	v_fma_f64 v[129:130], v[225:226], s[30:31], v[163:164]
	s_delay_alu instid0(VALU_DEP_1) | instskip(SKIP_1) | instid1(VALU_DEP_1)
	v_add_f64 v[127:128], v[129:130], v[127:128]
	v_fma_f64 v[129:130], v[235:236], s[16:17], -v[165:166]
	v_add_f64 v[125:126], v[129:130], v[125:126]
	v_fma_f64 v[129:130], v[239:240], s[16:17], v[250:251]
	s_delay_alu instid0(VALU_DEP_1) | instskip(SKIP_2) | instid1(VALU_DEP_2)
	v_add_f64 v[127:128], v[129:130], v[127:128]
	v_fma_f64 v[129:130], v[151:152], s[10:11], -v[22:23]
	v_fma_f64 v[22:23], v[151:152], s[10:11], v[22:23]
	v_add_f64 v[244:245], v[129:130], v[125:126]
	v_fma_f64 v[125:126], v[155:156], s[10:11], v[167:168]
	s_delay_alu instid0(VALU_DEP_1) | instskip(SKIP_2) | instid1(VALU_DEP_2)
	v_add_f64 v[246:247], v[125:126], v[127:128]
	v_fma_f64 v[125:126], v[191:192], s[10:11], -v[169:170]
	v_fma_f64 v[127:128], v[197:198], s[10:11], v[171:172]
	v_add_f64 v[125:126], v[125:126], v[131:132]
	s_delay_alu instid0(VALU_DEP_2) | instskip(SKIP_1) | instid1(VALU_DEP_1)
	v_add_f64 v[122:123], v[127:128], v[122:123]
	v_fma_f64 v[127:128], v[213:214], s[30:31], -v[173:174]
	v_add_f64 v[125:126], v[127:128], v[125:126]
	v_fma_f64 v[127:128], v[217:218], s[30:31], v[175:176]
	s_delay_alu instid0(VALU_DEP_1) | instskip(SKIP_1) | instid1(VALU_DEP_1)
	v_add_f64 v[122:123], v[127:128], v[122:123]
	v_fma_f64 v[127:128], v[221:222], s[14:15], -v[177:178]
	v_add_f64 v[125:126], v[127:128], v[125:126]
	v_fma_f64 v[127:128], v[225:226], s[14:15], v[179:180]
	s_delay_alu instid0(VALU_DEP_2) | instskip(NEXT) | instid1(VALU_DEP_2)
	v_add_f64 v[26:27], v[26:27], v[125:126]
	v_add_f64 v[122:123], v[127:128], v[122:123]
	s_delay_alu instid0(VALU_DEP_1) | instskip(SKIP_1) | instid1(VALU_DEP_1)
	v_add_f64 v[34:35], v[34:35], v[122:123]
	v_mul_f64 v[122:123], v[149:150], s[42:43]
	v_fma_f64 v[125:126], v[151:152], s[16:17], -v[122:123]
	s_delay_alu instid0(VALU_DEP_1) | instskip(SKIP_1) | instid1(VALU_DEP_1)
	v_add_f64 v[125:126], v[125:126], v[26:27]
	v_mul_f64 v[26:27], v[153:154], s[42:43]
	v_fma_f64 v[127:128], v[155:156], s[16:17], v[26:27]
	v_fma_f64 v[26:27], v[155:156], s[16:17], -v[26:27]
	s_delay_alu instid0(VALU_DEP_2) | instskip(SKIP_2) | instid1(VALU_DEP_2)
	v_add_f64 v[127:128], v[127:128], v[34:35]
	v_mul_f64 v[34:35], v[135:136], s[36:37]
	v_mul_f64 v[135:136], v[135:136], s[44:45]
	v_fma_f64 v[129:130], v[191:192], s[14:15], -v[34:35]
	s_delay_alu instid0(VALU_DEP_1) | instskip(SKIP_2) | instid1(VALU_DEP_2)
	v_add_f64 v[129:130], v[129:130], v[133:134]
	v_mul_f64 v[133:134], v[233:234], s[36:37]
	v_mul_f64 v[233:234], v[233:234], s[44:45]
	v_fma_f64 v[131:132], v[197:198], s[14:15], v[133:134]
	s_delay_alu instid0(VALU_DEP_1) | instskip(SKIP_2) | instid1(VALU_DEP_2)
	v_add_f64 v[131:132], v[131:132], v[181:182]
	v_mul_f64 v[181:182], v[248:249], s[26:27]
	v_mul_f64 v[248:249], v[248:249], s[20:21]
	v_fma_f64 v[183:184], v[213:214], s[16:17], -v[181:182]
	s_delay_alu instid0(VALU_DEP_1) | instskip(SKIP_2) | instid1(VALU_DEP_2)
	v_add_f64 v[129:130], v[183:184], v[129:130]
	v_mul_f64 v[183:184], v[44:45], s[26:27]
	v_mul_f64 v[44:45], v[44:45], s[20:21]
	v_fma_f64 v[185:186], v[217:218], s[16:17], v[183:184]
	s_delay_alu instid0(VALU_DEP_1) | instskip(SKIP_2) | instid1(VALU_DEP_2)
	;; [unrolled: 10-line block ×5, first 2 shown]
	v_add_f64 v[131:132], v[205:206], v[131:132]
	v_fma_f64 v[205:206], v[191:192], s[30:31], -v[135:136]
	v_fma_f64 v[135:136], v[191:192], s[30:31], v[135:136]
	v_add_f64 v[205:206], v[205:206], v[231:232]
	v_fma_f64 v[231:232], v[197:198], s[30:31], v[233:234]
	s_delay_alu instid0(VALU_DEP_3) | instskip(NEXT) | instid1(VALU_DEP_2)
	v_add_f64 v[135:136], v[135:136], v[211:212]
	v_add_f64 v[229:230], v[231:232], v[229:230]
	v_fma_f64 v[231:232], v[213:214], s[10:11], -v[248:249]
	s_delay_alu instid0(VALU_DEP_1) | instskip(SKIP_2) | instid1(VALU_DEP_2)
	v_add_f64 v[205:206], v[231:232], v[205:206]
	v_fma_f64 v[231:232], v[217:218], s[10:11], v[44:45]
	v_fma_f64 v[44:45], v[217:218], s[10:11], -v[44:45]
	v_add_f64 v[229:230], v[231:232], v[229:230]
	v_fma_f64 v[231:232], v[221:222], s[16:17], -v[48:49]
	v_fma_f64 v[48:49], v[221:222], s[16:17], v[48:49]
	s_delay_alu instid0(VALU_DEP_2) | instskip(SKIP_1) | instid1(VALU_DEP_1)
	v_add_f64 v[205:206], v[231:232], v[205:206]
	v_fma_f64 v[231:232], v[225:226], s[16:17], v[139:140]
	v_add_f64 v[229:230], v[231:232], v[229:230]
	v_fma_f64 v[231:232], v[235:236], s[12:13], -v[241:242]
	s_delay_alu instid0(VALU_DEP_1) | instskip(SKIP_2) | instid1(VALU_DEP_2)
	v_add_f64 v[205:206], v[231:232], v[205:206]
	v_fma_f64 v[231:232], v[239:240], s[12:13], v[20:21]
	v_fma_f64 v[20:21], v[239:240], s[12:13], -v[20:21]
	v_add_f64 v[231:232], v[231:232], v[229:230]
	v_fma_f64 v[229:230], v[151:152], s[14:15], -v[148:149]
	s_delay_alu instid0(VALU_DEP_1) | instskip(SKIP_1) | instid1(VALU_DEP_1)
	v_add_f64 v[229:230], v[229:230], v[205:206]
	v_fma_f64 v[205:206], v[155:156], s[14:15], v[153:154]
	v_add_f64 v[231:232], v[205:206], v[231:232]
	v_fma_f64 v[205:206], v[197:198], s[30:31], -v[233:234]
	s_delay_alu instid0(VALU_DEP_1) | instskip(SKIP_1) | instid1(VALU_DEP_2)
	v_add_f64 v[205:206], v[205:206], v[209:210]
	v_fma_f64 v[209:210], v[213:214], s[10:11], v[248:249]
	v_add_f64 v[44:45], v[44:45], v[205:206]
	s_delay_alu instid0(VALU_DEP_2) | instskip(NEXT) | instid1(VALU_DEP_1)
	v_add_f64 v[135:136], v[209:210], v[135:136]
	v_add_f64 v[48:49], v[48:49], v[135:136]
	v_fma_f64 v[135:136], v[225:226], s[16:17], -v[139:140]
	s_delay_alu instid0(VALU_DEP_1) | instskip(SKIP_1) | instid1(VALU_DEP_2)
	v_add_f64 v[44:45], v[135:136], v[44:45]
	v_fma_f64 v[135:136], v[235:236], s[12:13], v[241:242]
	v_add_f64 v[20:21], v[20:21], v[44:45]
	s_delay_alu instid0(VALU_DEP_2) | instskip(SKIP_2) | instid1(VALU_DEP_2)
	v_add_f64 v[48:49], v[135:136], v[48:49]
	v_fma_f64 v[44:45], v[151:152], s[14:15], v[148:149]
	v_fma_f64 v[135:136], v[155:156], s[14:15], -v[153:154]
	v_add_f64 v[209:210], v[44:45], v[48:49]
	scratch_load_b64 v[44:45], off, off offset:344 ; 8-byte Folded Reload
	v_add_f64 v[211:212], v[135:136], v[20:21]
	v_fma_f64 v[20:21], v[191:192], s[14:15], v[34:35]
	v_fma_f64 v[34:35], v[197:198], s[14:15], -v[133:134]
	v_fma_f64 v[48:49], v[155:156], s[12:13], -v[203:204]
	s_delay_alu instid0(VALU_DEP_3) | instskip(SKIP_1) | instid1(VALU_DEP_3)
	v_add_f64 v[20:21], v[20:21], v[207:208]
	s_waitcnt vmcnt(0)
	v_add_f64 v[34:35], v[34:35], v[44:45]
	v_fma_f64 v[44:45], v[213:214], s[16:17], v[181:182]
	s_delay_alu instid0(VALU_DEP_1) | instskip(SKIP_1) | instid1(VALU_DEP_1)
	v_add_f64 v[20:21], v[44:45], v[20:21]
	v_fma_f64 v[44:45], v[217:218], s[16:17], -v[183:184]
	v_add_f64 v[34:35], v[44:45], v[34:35]
	v_fma_f64 v[44:45], v[221:222], s[4:5], v[185:186]
	s_delay_alu instid0(VALU_DEP_1) | instskip(SKIP_1) | instid1(VALU_DEP_1)
	v_add_f64 v[20:21], v[44:45], v[20:21]
	v_fma_f64 v[44:45], v[225:226], s[4:5], -v[187:188]
	;; [unrolled: 5-line block ×3, first 2 shown]
	v_add_f64 v[34:35], v[44:45], v[34:35]
	v_fma_f64 v[44:45], v[151:152], s[12:13], v[201:202]
	s_delay_alu instid0(VALU_DEP_2)
	v_add_f64 v[207:208], v[48:49], v[34:35]
	scratch_load_b64 v[34:35], off, off offset:336 ; 8-byte Folded Reload
	v_add_f64 v[205:206], v[44:45], v[20:21]
	scratch_load_b64 v[44:45], off, off offset:328 ; 8-byte Folded Reload
	v_fma_f64 v[20:21], v[191:192], s[10:11], v[169:170]
	s_waitcnt vmcnt(1)
	s_delay_alu instid0(VALU_DEP_1) | instskip(SKIP_2) | instid1(VALU_DEP_1)
	v_add_f64 v[20:21], v[20:21], v[34:35]
	v_fma_f64 v[34:35], v[197:198], s[10:11], -v[171:172]
	s_waitcnt vmcnt(0)
	v_add_f64 v[34:35], v[34:35], v[44:45]
	v_fma_f64 v[44:45], v[213:214], s[30:31], v[173:174]
	s_delay_alu instid0(VALU_DEP_1) | instskip(SKIP_1) | instid1(VALU_DEP_1)
	v_add_f64 v[20:21], v[44:45], v[20:21]
	v_fma_f64 v[44:45], v[217:218], s[30:31], -v[175:176]
	v_add_f64 v[34:35], v[44:45], v[34:35]
	v_fma_f64 v[44:45], v[221:222], s[14:15], v[177:178]
	s_delay_alu instid0(VALU_DEP_1) | instskip(SKIP_1) | instid1(VALU_DEP_2)
	v_add_f64 v[20:21], v[44:45], v[20:21]
	v_fma_f64 v[44:45], v[225:226], s[14:15], -v[179:180]
	v_add_f64 v[20:21], v[24:25], v[20:21]
	s_delay_alu instid0(VALU_DEP_2) | instskip(SKIP_2) | instid1(VALU_DEP_2)
	v_add_f64 v[34:35], v[44:45], v[34:35]
	v_fma_f64 v[24:25], v[239:240], s[4:5], -v[32:33]
	v_fma_f64 v[32:33], v[151:152], s[16:17], v[122:123]
	v_add_f64 v[24:25], v[24:25], v[34:35]
	s_delay_alu instid0(VALU_DEP_2)
	v_add_f64 v[201:202], v[32:33], v[20:21]
	v_fma_f64 v[20:21], v[191:192], s[4:5], v[46:47]
	scratch_load_b64 v[32:33], off, off offset:264 ; 8-byte Folded Reload
	v_fma_f64 v[34:35], v[225:226], s[12:13], -v[227:228]
	v_add_f64 v[203:204], v[26:27], v[24:25]
	s_clause 0x1
	scratch_load_b64 v[24:25], off, off offset:304
	scratch_load_b64 v[26:27], off, off offset:296
	s_waitcnt vmcnt(1)
	v_add_f64 v[20:21], v[20:21], v[24:25]
	v_fma_f64 v[24:25], v[197:198], s[4:5], -v[142:143]
	s_waitcnt vmcnt(0)
	s_delay_alu instid0(VALU_DEP_1) | instskip(SKIP_1) | instid1(VALU_DEP_1)
	v_add_f64 v[24:25], v[24:25], v[26:27]
	v_fma_f64 v[26:27], v[213:214], s[12:13], v[157:158]
	v_add_f64 v[20:21], v[26:27], v[20:21]
	v_fma_f64 v[26:27], v[217:218], s[12:13], -v[159:160]
	s_delay_alu instid0(VALU_DEP_1) | instskip(SKIP_1) | instid1(VALU_DEP_1)
	v_add_f64 v[24:25], v[26:27], v[24:25]
	v_fma_f64 v[26:27], v[221:222], s[30:31], v[161:162]
	v_add_f64 v[20:21], v[26:27], v[20:21]
	v_fma_f64 v[26:27], v[225:226], s[30:31], -v[163:164]
	;; [unrolled: 5-line block ×3, first 2 shown]
	s_delay_alu instid0(VALU_DEP_2)
	v_add_f64 v[133:134], v[22:23], v[20:21]
	s_clause 0x1
	scratch_load_b64 v[20:21], off, off offset:312
	scratch_load_b64 v[22:23], off, off offset:320
	v_add_f64 v[24:25], v[26:27], v[24:25]
	v_fma_f64 v[26:27], v[155:156], s[10:11], -v[167:168]
	s_delay_alu instid0(VALU_DEP_1) | instskip(SKIP_4) | instid1(VALU_DEP_1)
	v_add_f64 v[135:136], v[26:27], v[24:25]
	v_fma_f64 v[24:25], v[213:214], s[14:15], v[215:216]
	v_fma_f64 v[26:27], v[217:218], s[14:15], -v[219:220]
	s_waitcnt vmcnt(1)
	v_fma_f64 v[20:21], v[191:192], s[16:17], v[20:21]
	v_add_f64 v[20:21], v[20:21], v[32:33]
	scratch_load_b64 v[32:33], off, off offset:272 ; 8-byte Folded Reload
	s_waitcnt vmcnt(1)
	v_fma_f64 v[22:23], v[197:198], s[16:17], -v[22:23]
	v_add_f64 v[20:21], v[24:25], v[20:21]
	v_fma_f64 v[24:25], v[235:236], s[10:11], v[237:238]
	s_waitcnt vmcnt(0)
	s_delay_alu instid0(VALU_DEP_3) | instskip(SKIP_1) | instid1(VALU_DEP_2)
	v_add_f64 v[22:23], v[22:23], v[32:33]
	v_fma_f64 v[32:33], v[221:222], s[12:13], v[223:224]
	v_add_f64 v[22:23], v[26:27], v[22:23]
	v_fma_f64 v[26:27], v[239:240], s[10:11], -v[110:111]
	s_delay_alu instid0(VALU_DEP_3) | instskip(SKIP_1) | instid1(VALU_DEP_4)
	v_add_f64 v[20:21], v[32:33], v[20:21]
	v_fma_f64 v[32:33], v[151:152], s[4:5], v[108:109]
	v_add_f64 v[22:23], v[34:35], v[22:23]
	v_fma_f64 v[34:35], v[155:156], s[4:5], -v[50:51]
	s_delay_alu instid0(VALU_DEP_4) | instskip(NEXT) | instid1(VALU_DEP_3)
	v_add_f64 v[20:21], v[24:25], v[20:21]
	v_add_f64 v[22:23], v[26:27], v[22:23]
	s_delay_alu instid0(VALU_DEP_2) | instskip(NEXT) | instid1(VALU_DEP_2)
	v_add_f64 v[185:186], v[32:33], v[20:21]
	v_add_f64 v[187:188], v[34:35], v[22:23]
	s_clause 0x1
	scratch_load_b64 v[20:21], off, off offset:248
	scratch_load_b64 v[22:23], off, off offset:280
	s_waitcnt vmcnt(0)
	v_add_f64 v[20:21], v[20:21], v[22:23]
	s_clause 0x1
	scratch_load_b64 v[22:23], off, off offset:256
	scratch_load_b64 v[24:25], off, off offset:288
	s_waitcnt vmcnt(0)
	v_add_f64 v[22:23], v[22:23], v[24:25]
	scratch_load_b64 v[24:25], off, off offset:352 ; 8-byte Folded Reload
	s_waitcnt vmcnt(0)
	v_add_f64 v[20:21], v[20:21], v[24:25]
	scratch_load_b64 v[24:25], off, off offset:360 ; 8-byte Folded Reload
	;; [unrolled: 3-line block ×6, first 2 shown]
	v_add_f64 v[20:21], v[20:21], v[195:196]
	s_waitcnt vmcnt(0)
	v_add_f64 v[22:23], v[22:23], v[24:25]
	scratch_load_b64 v[24:25], off, off offset:424 ; 8-byte Folded Reload
	v_add_f64 v[22:23], v[22:23], v[199:200]
	s_waitcnt vmcnt(0)
	v_add_f64 v[20:21], v[20:21], v[24:25]
	scratch_load_b64 v[24:25], off, off offset:432 ; 8-byte Folded Reload
	s_waitcnt vmcnt(0)
	v_add_f64 v[22:23], v[22:23], v[24:25]
	scratch_load_b64 v[24:25], off, off offset:392 ; 8-byte Folded Reload
	;; [unrolled: 3-line block ×4, first 2 shown]
	v_add_f64 v[22:23], v[22:23], v[146:147]
	s_delay_alu instid0(VALU_DEP_1) | instskip(NEXT) | instid1(VALU_DEP_1)
	v_add_f64 v[22:23], v[22:23], v[137:138]
	v_add_f64 v[22:23], v[22:23], v[112:113]
	s_waitcnt vmcnt(0)
	v_add_f64 v[20:21], v[20:21], v[24:25]
	scratch_load_b64 v[24:25], off, off offset:232 ; 8-byte Folded Reload
	v_add_f64 v[20:21], v[20:21], v[144:145]
	s_delay_alu instid0(VALU_DEP_1) | instskip(SKIP_1) | instid1(VALU_DEP_1)
	v_add_f64 v[20:21], v[20:21], v[114:115]
	s_waitcnt vmcnt(0)
	v_add_f64 v[108:109], v[20:21], v[24:25]
	scratch_load_b64 v[20:21], off, off offset:240 ; 8-byte Folded Reload
	s_waitcnt vmcnt(0)
	s_waitcnt_vscnt null, 0x0
	s_barrier
	buffer_gl0_inv
	v_add_f64 v[110:111], v[22:23], v[20:21]
	v_lshrrev_b32_e32 v20, 2, v116
	s_delay_alu instid0(VALU_DEP_1) | instskip(NEXT) | instid1(VALU_DEP_1)
	v_mul_u32_u24_e32 v20, 52, v20
	v_or_b32_e32 v20, v20, v117
	s_delay_alu instid0(VALU_DEP_1)
	v_lshl_add_u32 v20, v20, 4, 0
	ds_store_b128 v20, v[252:255] offset:128
	ds_store_b128 v20, v[244:247] offset:192
	;; [unrolled: 1-line block ×12, first 2 shown]
	ds_store_b128 v20, v[108:111]
	scratch_load_b32 v20, off, off offset:132 ; 4-byte Folded Reload
	s_waitcnt vmcnt(0)
	v_sub_nc_u32_e32 v104, 0, v20
	v_lshlrev_b32_e32 v20, 4, v124
	s_delay_alu instid0(VALU_DEP_1)
	v_sub_nc_u32_e32 v107, 0, v20
	scratch_load_b32 v20, off, off offset:136 ; 4-byte Folded Reload
	s_waitcnt vmcnt(0)
	v_sub_nc_u32_e32 v108, 0, v20
	scratch_load_b32 v20, off, off offset:140 ; 4-byte Folded Reload
	s_waitcnt vmcnt(0)
	;; [unrolled: 3-line block ×4, first 2 shown]
	v_sub_nc_u32_e32 v106, 0, v20
	s_and_saveexec_b32 s1, s0
	s_cbranch_execz .LBB0_17
; %bb.16:
	s_clause 0x1
	scratch_load_b128 v[22:25], off, off offset:168
	scratch_load_b128 v[32:35], off, off offset:184
	s_waitcnt vmcnt(1)
	v_mul_f64 v[20:21], v[22:23], v[54:55]
	s_delay_alu instid0(VALU_DEP_1) | instskip(SKIP_1) | instid1(VALU_DEP_1)
	v_fma_f64 v[100:101], v[24:25], v[52:53], v[20:21]
	v_mul_f64 v[20:21], v[24:25], v[54:55]
	v_fma_f64 v[102:103], v[22:23], v[52:53], -v[20:21]
	v_mul_f64 v[20:21], v[12:13], v[94:95]
	v_mul_f64 v[22:23], v[30:31], v[82:83]
	s_delay_alu instid0(VALU_DEP_2) | instskip(SKIP_2) | instid1(VALU_DEP_4)
	v_fma_f64 v[24:25], v[14:15], v[92:93], v[20:21]
	v_mul_f64 v[20:21], v[38:39], v[98:99]
	v_mul_f64 v[14:15], v[14:15], v[94:95]
	v_fma_f64 v[22:23], v[28:29], v[80:81], -v[22:23]
	s_delay_alu instid0(VALU_DEP_3) | instskip(SKIP_2) | instid1(VALU_DEP_4)
	v_fma_f64 v[26:27], v[36:37], v[96:97], -v[20:21]
	s_waitcnt vmcnt(0)
	v_mul_f64 v[20:21], v[32:33], v[78:79]
	v_fma_f64 v[12:13], v[12:13], v[92:93], -v[14:15]
	v_mul_f64 v[14:15], v[36:37], v[98:99]
	s_delay_alu instid0(VALU_DEP_3) | instskip(SKIP_1) | instid1(VALU_DEP_3)
	v_fma_f64 v[36:37], v[34:35], v[76:77], v[20:21]
	v_mul_f64 v[20:21], v[34:35], v[78:79]
	v_fma_f64 v[14:15], v[38:39], v[96:97], v[14:15]
	v_add_f64 v[164:165], v[12:13], -v[26:27]
	v_add_f64 v[170:171], v[12:13], v[26:27]
	s_delay_alu instid0(VALU_DEP_4) | instskip(SKIP_3) | instid1(VALU_DEP_3)
	v_fma_f64 v[34:35], v[32:33], v[76:77], -v[20:21]
	v_mul_f64 v[20:21], v[16:17], v[86:87]
	v_add_f64 v[162:163], v[24:25], v[14:15]
	v_add_f64 v[168:169], v[24:25], -v[14:15]
	v_fma_f64 v[32:33], v[18:19], v[84:85], v[20:21]
	v_mul_f64 v[18:19], v[18:19], v[86:87]
	s_delay_alu instid0(VALU_DEP_4) | instskip(NEXT) | instid1(VALU_DEP_4)
	v_mul_f64 v[166:167], v[162:163], s[14:15]
	v_mul_f64 v[172:173], v[168:169], s[36:37]
	;; [unrolled: 1-line block ×4, first 2 shown]
	v_add_f64 v[152:153], v[36:37], v[32:33]
	v_fma_f64 v[16:17], v[16:17], v[84:85], -v[18:19]
	v_mul_f64 v[18:19], v[8:9], v[74:75]
	v_add_f64 v[156:157], v[36:37], -v[32:33]
	s_delay_alu instid0(VALU_DEP_4) | instskip(NEXT) | instid1(VALU_DEP_4)
	v_mul_f64 v[186:187], v[152:153], s[14:15]
	v_add_f64 v[154:155], v[34:35], -v[16:17]
	s_delay_alu instid0(VALU_DEP_4) | instskip(SKIP_3) | instid1(VALU_DEP_3)
	v_fma_f64 v[18:19], v[10:11], v[72:73], v[18:19]
	v_mul_f64 v[10:11], v[10:11], v[74:75]
	v_add_f64 v[158:159], v[34:35], v[16:17]
	v_mul_f64 v[188:189], v[156:157], s[36:37]
	v_fma_f64 v[38:39], v[8:9], v[72:73], -v[10:11]
	v_mul_f64 v[8:9], v[40:41], v[90:91]
	v_mul_f64 v[10:11], v[42:43], v[90:91]
	s_delay_alu instid0(VALU_DEP_2) | instskip(SKIP_4) | instid1(VALU_DEP_3)
	v_fma_f64 v[8:9], v[42:43], v[88:89], v[8:9]
	scratch_load_b128 v[42:45], off, off offset:152 ; 16-byte Folded Reload
	v_fma_f64 v[10:11], v[40:41], v[88:89], -v[10:11]
	v_add_f64 v[144:145], v[18:19], v[8:9]
	v_add_f64 v[148:149], v[18:19], -v[8:9]
	v_add_f64 v[146:147], v[38:39], -v[10:11]
	v_add_f64 v[150:151], v[38:39], v[10:11]
	s_delay_alu instid0(VALU_DEP_4) | instskip(NEXT) | instid1(VALU_DEP_4)
	v_mul_f64 v[182:183], v[144:145], s[10:11]
	v_mul_f64 v[184:185], v[148:149], s[34:35]
	s_waitcnt vmcnt(0)
	v_mul_f64 v[20:21], v[42:43], v[70:71]
	s_delay_alu instid0(VALU_DEP_1)
	v_fma_f64 v[40:41], v[44:45], v[68:69], v[20:21]
	v_mul_f64 v[20:21], v[44:45], v[70:71]
	scratch_load_b128 v[44:47], off, off offset:216 ; 16-byte Folded Reload
	v_fma_f64 v[42:43], v[42:43], v[68:69], -v[20:21]
	v_mul_f64 v[20:21], v[28:29], v[82:83]
	v_mul_f64 v[28:29], v[4:5], v[62:63]
	s_delay_alu instid0(VALU_DEP_3) | instskip(NEXT) | instid1(VALU_DEP_3)
	v_add_f64 v[137:138], v[42:43], -v[22:23]
	v_fma_f64 v[20:21], v[30:31], v[80:81], v[20:21]
	s_delay_alu instid0(VALU_DEP_3)
	v_fma_f64 v[52:53], v[6:7], v[60:61], v[28:29]
	scratch_load_b128 v[28:31], off, off offset:200 ; 16-byte Folded Reload
	v_mul_f64 v[6:7], v[6:7], v[62:63]
	v_add_f64 v[142:143], v[42:43], v[22:23]
	v_add_f64 v[135:136], v[40:41], v[20:21]
	v_add_f64 v[139:140], v[40:41], -v[20:21]
	s_delay_alu instid0(VALU_DEP_4) | instskip(NEXT) | instid1(VALU_DEP_3)
	v_fma_f64 v[54:55], v[4:5], v[60:61], -v[6:7]
	v_mul_f64 v[178:179], v[135:136], s[4:5]
	s_delay_alu instid0(VALU_DEP_3) | instskip(SKIP_3) | instid1(VALU_DEP_2)
	v_mul_f64 v[180:181], v[139:140], s[18:19]
	s_waitcnt vmcnt(0)
	v_mul_f64 v[6:7], v[30:31], v[66:67]
	v_mul_f64 v[4:5], v[28:29], v[66:67]
	v_fma_f64 v[6:7], v[28:29], v[64:65], -v[6:7]
	v_mul_f64 v[28:29], v[44:45], v[58:59]
	s_delay_alu instid0(VALU_DEP_3) | instskip(SKIP_1) | instid1(VALU_DEP_4)
	v_fma_f64 v[4:5], v[30:31], v[64:65], v[4:5]
	v_mul_f64 v[30:31], v[46:47], v[58:59]
	v_add_f64 v[133:134], v[54:55], v[6:7]
	s_delay_alu instid0(VALU_DEP_4) | instskip(NEXT) | instid1(VALU_DEP_4)
	v_fma_f64 v[28:29], v[46:47], v[56:57], v[28:29]
	v_add_f64 v[129:130], v[52:53], v[4:5]
	s_delay_alu instid0(VALU_DEP_4) | instskip(SKIP_1) | instid1(VALU_DEP_4)
	v_fma_f64 v[30:31], v[44:45], v[56:57], -v[30:31]
	v_add_f64 v[131:132], v[52:53], -v[4:5]
	v_add_f64 v[44:45], v[100:101], v[28:29]
	s_delay_alu instid0(VALU_DEP_4) | instskip(NEXT) | instid1(VALU_DEP_4)
	v_mul_f64 v[174:175], v[129:130], s[12:13]
	v_add_f64 v[60:61], v[102:103], -v[30:31]
	v_add_f64 v[84:85], v[102:103], v[30:31]
	v_mul_f64 v[176:177], v[131:132], s[22:23]
	v_mul_f64 v[194:195], v[129:130], s[4:5]
	;; [unrolled: 1-line block ×8, first 2 shown]
	v_fma_f64 v[62:63], v[60:61], s[40:41], v[46:47]
	v_fma_f64 v[64:65], v[60:61], s[18:19], v[46:47]
	;; [unrolled: 1-line block ×12, first 2 shown]
	v_add_f64 v[44:45], v[100:101], -v[28:29]
	v_add_f64 v[62:63], v[2:3], v[62:63]
	v_add_f64 v[64:65], v[2:3], v[64:65]
	;; [unrolled: 1-line block ×7, first 2 shown]
	v_mul_f64 v[46:47], v[44:45], s[18:19]
	v_mul_f64 v[76:77], v[44:45], s[20:21]
	;; [unrolled: 1-line block ×6, first 2 shown]
	v_fma_f64 v[86:87], v[84:85], s[4:5], v[46:47]
	v_fma_f64 v[88:89], v[84:85], s[4:5], -v[46:47]
	v_fma_f64 v[90:91], v[84:85], s[10:11], v[76:77]
	v_fma_f64 v[76:77], v[84:85], s[10:11], -v[76:77]
	;; [unrolled: 2-line block ×6, first 2 shown]
	v_add_f64 v[44:45], v[2:3], v[100:101]
	v_add_f64 v[46:47], v[0:1], v[102:103]
	;; [unrolled: 1-line block ×5, first 2 shown]
	v_mul_f64 v[68:69], v[135:136], s[10:11]
	v_add_f64 v[86:87], v[0:1], v[86:87]
	v_add_f64 v[88:89], v[0:1], v[88:89]
	;; [unrolled: 1-line block ×14, first 2 shown]
	v_add_f64 v[0:1], v[54:55], -v[6:7]
	v_mul_f64 v[60:61], v[129:130], s[30:31]
	v_fma_f64 v[70:71], v[137:138], s[34:35], v[68:69]
	s_delay_alu instid0(VALU_DEP_2) | instskip(SKIP_1) | instid1(VALU_DEP_2)
	v_fma_f64 v[56:57], v[0:1], s[28:29], v[60:61]
	v_fma_f64 v[60:61], v[0:1], s[44:45], v[60:61]
	v_add_f64 v[56:57], v[56:57], v[62:63]
	v_mul_f64 v[62:63], v[131:132], s[44:45]
	s_delay_alu instid0(VALU_DEP_3)
	v_add_f64 v[60:61], v[60:61], v[64:65]
	v_fma_f64 v[64:65], v[137:138], s[20:21], v[68:69]
	v_fma_f64 v[68:69], v[170:171], s[14:15], -v[172:173]
	v_add_f64 v[56:57], v[70:71], v[56:57]
	v_fma_f64 v[58:59], v[133:134], s[30:31], v[62:63]
	v_mul_f64 v[70:71], v[139:140], s[20:21]
	v_fma_f64 v[62:63], v[133:134], s[30:31], -v[62:63]
	v_add_f64 v[60:61], v[64:65], v[60:61]
	s_delay_alu instid0(VALU_DEP_4) | instskip(NEXT) | instid1(VALU_DEP_4)
	v_add_f64 v[58:59], v[58:59], v[86:87]
	v_fma_f64 v[72:73], v[142:143], s[10:11], v[70:71]
	s_delay_alu instid0(VALU_DEP_4) | instskip(SKIP_2) | instid1(VALU_DEP_4)
	v_add_f64 v[62:63], v[62:63], v[88:89]
	v_fma_f64 v[64:65], v[142:143], s[10:11], -v[70:71]
	v_mul_f64 v[70:71], v[131:132], s[36:37]
	v_add_f64 v[58:59], v[72:73], v[58:59]
	v_mul_f64 v[72:73], v[144:145], s[16:17]
	s_delay_alu instid0(VALU_DEP_4) | instskip(NEXT) | instid1(VALU_DEP_2)
	v_add_f64 v[62:63], v[64:65], v[62:63]
	v_fma_f64 v[74:75], v[146:147], s[26:27], v[72:73]
	v_fma_f64 v[64:65], v[146:147], s[42:43], v[72:73]
	v_mul_f64 v[72:73], v[135:136], s[16:17]
	s_delay_alu instid0(VALU_DEP_3) | instskip(SKIP_1) | instid1(VALU_DEP_4)
	v_add_f64 v[56:57], v[74:75], v[56:57]
	v_mul_f64 v[74:75], v[148:149], s[42:43]
	v_add_f64 v[60:61], v[64:65], v[60:61]
	s_delay_alu instid0(VALU_DEP_2) | instskip(SKIP_3) | instid1(VALU_DEP_4)
	v_fma_f64 v[84:85], v[150:151], s[16:17], v[74:75]
	v_fma_f64 v[64:65], v[150:151], s[16:17], -v[74:75]
	v_fma_f64 v[74:75], v[137:138], s[42:43], v[72:73]
	v_fma_f64 v[72:73], v[137:138], s[26:27], v[72:73]
	v_add_f64 v[58:59], v[84:85], v[58:59]
	v_mul_f64 v[84:85], v[152:153], s[12:13]
	v_add_f64 v[62:63], v[64:65], v[62:63]
	s_delay_alu instid0(VALU_DEP_2) | instskip(SKIP_1) | instid1(VALU_DEP_2)
	v_fma_f64 v[86:87], v[154:155], s[38:39], v[84:85]
	v_fma_f64 v[64:65], v[154:155], s[22:23], v[84:85]
	v_add_f64 v[56:57], v[86:87], v[56:57]
	v_mul_f64 v[86:87], v[156:157], s[22:23]
	s_delay_alu instid0(VALU_DEP_3) | instskip(NEXT) | instid1(VALU_DEP_2)
	v_add_f64 v[60:61], v[64:65], v[60:61]
	v_fma_f64 v[64:65], v[158:159], s[12:13], -v[86:87]
	v_fma_f64 v[160:161], v[158:159], s[12:13], v[86:87]
	s_delay_alu instid0(VALU_DEP_2) | instskip(SKIP_1) | instid1(VALU_DEP_3)
	v_add_f64 v[64:65], v[64:65], v[62:63]
	v_fma_f64 v[62:63], v[164:165], s[36:37], v[166:167]
	v_add_f64 v[160:161], v[160:161], v[58:59]
	v_fma_f64 v[58:59], v[164:165], s[24:25], v[166:167]
	v_mul_f64 v[166:167], v[162:163], s[12:13]
	s_delay_alu instid0(VALU_DEP_4)
	v_add_f64 v[62:63], v[62:63], v[60:61]
	v_add_f64 v[60:61], v[68:69], v[64:65]
	v_mul_f64 v[68:69], v[129:130], s[14:15]
	v_add_f64 v[58:59], v[58:59], v[56:57]
	v_fma_f64 v[56:57], v[170:171], s[14:15], v[172:173]
	v_mul_f64 v[172:173], v[168:169], s[22:23]
	s_delay_alu instid0(VALU_DEP_4) | instskip(SKIP_1) | instid1(VALU_DEP_4)
	v_fma_f64 v[64:65], v[0:1], s[24:25], v[68:69]
	v_fma_f64 v[68:69], v[0:1], s[36:37], v[68:69]
	v_add_f64 v[56:57], v[56:57], v[160:161]
	s_delay_alu instid0(VALU_DEP_3) | instskip(SKIP_1) | instid1(VALU_DEP_4)
	v_add_f64 v[64:65], v[64:65], v[66:67]
	v_fma_f64 v[66:67], v[133:134], s[14:15], v[70:71]
	v_add_f64 v[68:69], v[68:69], v[100:101]
	v_fma_f64 v[70:71], v[133:134], s[14:15], -v[70:71]
	v_mul_f64 v[100:101], v[148:149], s[24:25]
	v_add_f64 v[64:65], v[74:75], v[64:65]
	v_mul_f64 v[74:75], v[139:140], s[26:27]
	v_add_f64 v[66:67], v[66:67], v[90:91]
	v_add_f64 v[70:71], v[70:71], v[76:77]
	;; [unrolled: 1-line block ×3, first 2 shown]
	s_delay_alu instid0(VALU_DEP_4) | instskip(SKIP_2) | instid1(VALU_DEP_3)
	v_fma_f64 v[84:85], v[142:143], s[16:17], v[74:75]
	v_fma_f64 v[72:73], v[142:143], s[16:17], -v[74:75]
	v_fma_f64 v[74:75], v[170:171], s[12:13], -v[172:173]
	v_add_f64 v[66:67], v[84:85], v[66:67]
	v_mul_f64 v[84:85], v[144:145], s[4:5]
	s_delay_alu instid0(VALU_DEP_4) | instskip(NEXT) | instid1(VALU_DEP_2)
	v_add_f64 v[70:71], v[72:73], v[70:71]
	v_fma_f64 v[86:87], v[146:147], s[18:19], v[84:85]
	v_fma_f64 v[72:73], v[146:147], s[40:41], v[84:85]
	v_mul_f64 v[84:85], v[129:130], s[10:11]
	s_delay_alu instid0(VALU_DEP_3) | instskip(SKIP_1) | instid1(VALU_DEP_4)
	v_add_f64 v[64:65], v[86:87], v[64:65]
	v_mul_f64 v[86:87], v[148:149], s[40:41]
	v_add_f64 v[68:69], v[72:73], v[68:69]
	s_delay_alu instid0(VALU_DEP_2) | instskip(SKIP_2) | instid1(VALU_DEP_3)
	v_fma_f64 v[88:89], v[150:151], s[4:5], v[86:87]
	v_fma_f64 v[72:73], v[150:151], s[4:5], -v[86:87]
	v_mul_f64 v[86:87], v[131:132], s[34:35]
	v_add_f64 v[66:67], v[88:89], v[66:67]
	v_mul_f64 v[88:89], v[152:153], s[30:31]
	s_delay_alu instid0(VALU_DEP_4) | instskip(NEXT) | instid1(VALU_DEP_2)
	v_add_f64 v[70:71], v[72:73], v[70:71]
	v_fma_f64 v[90:91], v[154:155], s[28:29], v[88:89]
	v_fma_f64 v[72:73], v[154:155], s[44:45], v[88:89]
	v_mul_f64 v[88:89], v[135:136], s[30:31]
	s_delay_alu instid0(VALU_DEP_3) | instskip(SKIP_1) | instid1(VALU_DEP_4)
	v_add_f64 v[64:65], v[90:91], v[64:65]
	v_mul_f64 v[90:91], v[156:157], s[44:45]
	v_add_f64 v[68:69], v[72:73], v[68:69]
	s_delay_alu instid0(VALU_DEP_4) | instskip(SKIP_1) | instid1(VALU_DEP_4)
	v_fma_f64 v[76:77], v[137:138], s[28:29], v[88:89]
	v_fma_f64 v[88:89], v[137:138], s[44:45], v[88:89]
	v_fma_f64 v[72:73], v[158:159], s[30:31], -v[90:91]
	v_fma_f64 v[160:161], v[158:159], s[30:31], v[90:91]
	v_mul_f64 v[90:91], v[139:140], s[44:45]
	s_delay_alu instid0(VALU_DEP_3) | instskip(SKIP_1) | instid1(VALU_DEP_4)
	v_add_f64 v[72:73], v[72:73], v[70:71]
	v_fma_f64 v[70:71], v[164:165], s[22:23], v[166:167]
	v_add_f64 v[160:161], v[160:161], v[66:67]
	v_fma_f64 v[66:67], v[164:165], s[38:39], v[166:167]
	v_mul_f64 v[166:167], v[162:163], s[16:17]
	s_delay_alu instid0(VALU_DEP_4)
	v_add_f64 v[70:71], v[70:71], v[68:69]
	v_add_f64 v[68:69], v[74:75], v[72:73]
	v_fma_f64 v[72:73], v[0:1], s[20:21], v[84:85]
	v_fma_f64 v[74:75], v[133:134], s[10:11], v[86:87]
	v_add_f64 v[66:67], v[66:67], v[64:65]
	v_fma_f64 v[64:65], v[170:171], s[12:13], v[172:173]
	v_mul_f64 v[172:173], v[168:169], s[42:43]
	v_fma_f64 v[84:85], v[0:1], s[34:35], v[84:85]
	v_fma_f64 v[86:87], v[133:134], s[10:11], -v[86:87]
	v_add_f64 v[72:73], v[72:73], v[102:103]
	v_add_f64 v[74:75], v[74:75], v[92:93]
	v_mul_f64 v[92:93], v[144:145], s[14:15]
	v_mul_f64 v[102:103], v[152:153], s[4:5]
	v_add_f64 v[64:65], v[64:65], v[160:161]
	v_mul_f64 v[160:161], v[156:157], s[40:41]
	v_add_f64 v[84:85], v[84:85], v[111:112]
	v_add_f64 v[86:87], v[86:87], v[113:114]
	v_mul_f64 v[111:112], v[135:136], s[14:15]
	v_mul_f64 v[113:114], v[139:140], s[24:25]
	v_add_f64 v[72:73], v[76:77], v[72:73]
	v_fma_f64 v[76:77], v[142:143], s[30:31], v[90:91]
	v_add_f64 v[84:85], v[88:89], v[84:85]
	v_fma_f64 v[88:89], v[142:143], s[30:31], -v[90:91]
	v_fma_f64 v[90:91], v[170:171], s[16:17], -v[172:173]
	s_delay_alu instid0(VALU_DEP_4) | instskip(SKIP_1) | instid1(VALU_DEP_4)
	v_add_f64 v[74:75], v[76:77], v[74:75]
	v_fma_f64 v[76:77], v[146:147], s[36:37], v[92:93]
	v_add_f64 v[86:87], v[88:89], v[86:87]
	v_fma_f64 v[88:89], v[146:147], s[24:25], v[92:93]
	s_delay_alu instid0(VALU_DEP_3) | instskip(SKIP_1) | instid1(VALU_DEP_3)
	v_add_f64 v[72:73], v[76:77], v[72:73]
	v_fma_f64 v[76:77], v[150:151], s[14:15], v[100:101]
	v_add_f64 v[84:85], v[88:89], v[84:85]
	v_fma_f64 v[88:89], v[150:151], s[14:15], -v[100:101]
	v_fma_f64 v[100:101], v[170:171], s[30:31], v[192:193]
	s_delay_alu instid0(VALU_DEP_4) | instskip(SKIP_1) | instid1(VALU_DEP_4)
	v_add_f64 v[74:75], v[76:77], v[74:75]
	v_fma_f64 v[76:77], v[154:155], s[18:19], v[102:103]
	v_add_f64 v[86:87], v[88:89], v[86:87]
	v_fma_f64 v[88:89], v[154:155], s[40:41], v[102:103]
	v_mul_f64 v[102:103], v[131:132], s[26:27]
	s_delay_alu instid0(VALU_DEP_4) | instskip(SKIP_1) | instid1(VALU_DEP_4)
	v_add_f64 v[72:73], v[76:77], v[72:73]
	v_fma_f64 v[76:77], v[158:159], s[4:5], v[160:161]
	v_add_f64 v[84:85], v[88:89], v[84:85]
	v_fma_f64 v[88:89], v[158:159], s[4:5], -v[160:161]
	s_delay_alu instid0(VALU_DEP_3) | instskip(SKIP_1) | instid1(VALU_DEP_3)
	v_add_f64 v[76:77], v[76:77], v[74:75]
	v_fma_f64 v[74:75], v[164:165], s[26:27], v[166:167]
	v_add_f64 v[88:89], v[88:89], v[86:87]
	v_fma_f64 v[86:87], v[164:165], s[42:43], v[166:167]
	s_delay_alu instid0(VALU_DEP_3) | instskip(SKIP_1) | instid1(VALU_DEP_3)
	v_add_f64 v[74:75], v[74:75], v[72:73]
	v_fma_f64 v[72:73], v[170:171], s[16:17], v[172:173]
	v_add_f64 v[86:87], v[86:87], v[84:85]
	v_add_f64 v[84:85], v[90:91], v[88:89]
	v_fma_f64 v[88:89], v[0:1], s[40:41], v[194:195]
	s_delay_alu instid0(VALU_DEP_4) | instskip(SKIP_1) | instid1(VALU_DEP_3)
	v_add_f64 v[72:73], v[72:73], v[76:77]
	v_fma_f64 v[76:77], v[0:1], s[22:23], v[174:175]
	v_add_f64 v[88:89], v[88:89], v[122:123]
	v_mul_f64 v[122:123], v[144:145], s[12:13]
	s_delay_alu instid0(VALU_DEP_3) | instskip(SKIP_1) | instid1(VALU_DEP_1)
	v_add_f64 v[76:77], v[76:77], v[78:79]
	v_fma_f64 v[78:79], v[133:134], s[12:13], -v[176:177]
	v_add_f64 v[78:79], v[78:79], v[82:83]
	v_fma_f64 v[82:83], v[137:138], s[18:19], v[178:179]
	s_delay_alu instid0(VALU_DEP_1) | instskip(SKIP_1) | instid1(VALU_DEP_1)
	v_add_f64 v[76:77], v[82:83], v[76:77]
	v_fma_f64 v[82:83], v[142:143], s[4:5], -v[180:181]
	v_add_f64 v[78:79], v[82:83], v[78:79]
	v_fma_f64 v[82:83], v[146:147], s[34:35], v[182:183]
	s_delay_alu instid0(VALU_DEP_1) | instskip(SKIP_1) | instid1(VALU_DEP_1)
	;; [unrolled: 5-line block ×4, first 2 shown]
	v_add_f64 v[78:79], v[78:79], v[76:77]
	v_fma_f64 v[76:77], v[170:171], s[30:31], -v[192:193]
	v_add_f64 v[76:77], v[76:77], v[82:83]
	v_fma_f64 v[82:83], v[0:1], s[18:19], v[194:195]
	s_delay_alu instid0(VALU_DEP_1) | instskip(SKIP_2) | instid1(VALU_DEP_2)
	v_add_f64 v[82:83], v[82:83], v[125:126]
	v_mul_f64 v[125:126], v[131:132], s[18:19]
	v_mul_f64 v[131:132], v[162:163], s[4:5]
	v_fma_f64 v[196:197], v[133:134], s[4:5], -v[125:126]
	v_fma_f64 v[90:91], v[133:134], s[4:5], v[125:126]
	v_mul_f64 v[125:126], v[148:149], s[22:23]
	s_delay_alu instid0(VALU_DEP_3) | instskip(SKIP_1) | instid1(VALU_DEP_4)
	v_add_f64 v[80:81], v[196:197], v[80:81]
	v_mul_f64 v[196:197], v[135:136], s[12:13]
	v_add_f64 v[90:91], v[90:91], v[94:95]
	v_mul_f64 v[135:136], v[168:169], s[18:19]
	s_delay_alu instid0(VALU_DEP_3) | instskip(SKIP_1) | instid1(VALU_DEP_2)
	v_fma_f64 v[198:199], v[137:138], s[38:39], v[196:197]
	v_fma_f64 v[92:93], v[137:138], s[22:23], v[196:197]
	v_add_f64 v[82:83], v[198:199], v[82:83]
	v_mul_f64 v[198:199], v[139:140], s[38:39]
	s_delay_alu instid0(VALU_DEP_3) | instskip(NEXT) | instid1(VALU_DEP_2)
	v_add_f64 v[88:89], v[92:93], v[88:89]
	v_fma_f64 v[200:201], v[142:143], s[12:13], -v[198:199]
	v_fma_f64 v[92:93], v[142:143], s[12:13], v[198:199]
	s_delay_alu instid0(VALU_DEP_2) | instskip(SKIP_1) | instid1(VALU_DEP_3)
	v_add_f64 v[80:81], v[200:201], v[80:81]
	v_mul_f64 v[200:201], v[144:145], s[30:31]
	v_add_f64 v[90:91], v[92:93], v[90:91]
	s_delay_alu instid0(VALU_DEP_2) | instskip(SKIP_1) | instid1(VALU_DEP_2)
	v_fma_f64 v[202:203], v[146:147], s[44:45], v[200:201]
	v_fma_f64 v[92:93], v[146:147], s[28:29], v[200:201]
	v_add_f64 v[82:83], v[202:203], v[82:83]
	v_mul_f64 v[202:203], v[148:149], s[44:45]
	s_delay_alu instid0(VALU_DEP_3) | instskip(NEXT) | instid1(VALU_DEP_2)
	v_add_f64 v[88:89], v[92:93], v[88:89]
	v_fma_f64 v[204:205], v[150:151], s[30:31], -v[202:203]
	v_fma_f64 v[92:93], v[150:151], s[30:31], v[202:203]
	s_delay_alu instid0(VALU_DEP_2) | instskip(SKIP_1) | instid1(VALU_DEP_3)
	v_add_f64 v[80:81], v[204:205], v[80:81]
	v_mul_f64 v[204:205], v[152:153], s[16:17]
	v_add_f64 v[90:91], v[92:93], v[90:91]
	s_delay_alu instid0(VALU_DEP_2) | instskip(SKIP_1) | instid1(VALU_DEP_2)
	;; [unrolled: 13-line block ×3, first 2 shown]
	v_fma_f64 v[210:211], v[164:165], s[20:21], v[208:209]
	v_fma_f64 v[90:91], v[164:165], s[34:35], v[208:209]
	v_add_f64 v[82:83], v[210:211], v[82:83]
	v_mul_f64 v[210:211], v[168:169], s[20:21]
	s_delay_alu instid0(VALU_DEP_3) | instskip(NEXT) | instid1(VALU_DEP_2)
	v_add_f64 v[90:91], v[90:91], v[88:89]
	v_fma_f64 v[94:95], v[170:171], s[10:11], v[210:211]
	v_fma_f64 v[212:213], v[170:171], s[10:11], -v[210:211]
	s_delay_alu instid0(VALU_DEP_2) | instskip(SKIP_2) | instid1(VALU_DEP_4)
	v_add_f64 v[88:89], v[94:95], v[92:93]
	v_fma_f64 v[92:93], v[0:1], s[38:39], v[174:175]
	v_fma_f64 v[94:95], v[133:134], s[12:13], v[176:177]
	v_add_f64 v[80:81], v[212:213], v[80:81]
	s_delay_alu instid0(VALU_DEP_3) | instskip(NEXT) | instid1(VALU_DEP_3)
	v_add_f64 v[92:93], v[92:93], v[127:128]
	v_add_f64 v[94:95], v[94:95], v[96:97]
	v_fma_f64 v[96:97], v[137:138], s[40:41], v[178:179]
	v_mul_f64 v[127:128], v[152:153], s[10:11]
	s_delay_alu instid0(VALU_DEP_2) | instskip(SKIP_1) | instid1(VALU_DEP_1)
	v_add_f64 v[92:93], v[96:97], v[92:93]
	v_fma_f64 v[96:97], v[142:143], s[4:5], v[180:181]
	v_add_f64 v[94:95], v[96:97], v[94:95]
	v_fma_f64 v[96:97], v[146:147], s[20:21], v[182:183]
	s_delay_alu instid0(VALU_DEP_1) | instskip(SKIP_1) | instid1(VALU_DEP_1)
	v_add_f64 v[92:93], v[96:97], v[92:93]
	v_fma_f64 v[96:97], v[150:151], s[10:11], v[184:185]
	v_add_f64 v[94:95], v[96:97], v[94:95]
	v_fma_f64 v[96:97], v[154:155], s[24:25], v[186:187]
	s_delay_alu instid0(VALU_DEP_1) | instskip(SKIP_1) | instid1(VALU_DEP_1)
	v_add_f64 v[92:93], v[96:97], v[92:93]
	v_fma_f64 v[96:97], v[158:159], s[14:15], v[188:189]
	v_add_f64 v[96:97], v[96:97], v[94:95]
	v_fma_f64 v[94:95], v[164:165], s[28:29], v[190:191]
	s_delay_alu instid0(VALU_DEP_1) | instskip(NEXT) | instid1(VALU_DEP_3)
	v_add_f64 v[94:95], v[94:95], v[92:93]
	v_add_f64 v[92:93], v[100:101], v[96:97]
	v_mul_f64 v[100:101], v[129:130], s[16:17]
	v_mul_f64 v[129:130], v[156:157], s[20:21]
	s_delay_alu instid0(VALU_DEP_2) | instskip(SKIP_1) | instid1(VALU_DEP_2)
	v_fma_f64 v[96:97], v[0:1], s[26:27], v[100:101]
	v_fma_f64 v[0:1], v[0:1], s[42:43], v[100:101]
	v_add_f64 v[2:3], v[96:97], v[2:3]
	v_fma_f64 v[96:97], v[133:134], s[16:17], -v[102:103]
	s_delay_alu instid0(VALU_DEP_3) | instskip(NEXT) | instid1(VALU_DEP_2)
	v_add_f64 v[0:1], v[0:1], v[48:49]
	v_add_f64 v[96:97], v[96:97], v[98:99]
	v_fma_f64 v[98:99], v[137:138], s[24:25], v[111:112]
	s_delay_alu instid0(VALU_DEP_1) | instskip(SKIP_1) | instid1(VALU_DEP_1)
	v_add_f64 v[2:3], v[98:99], v[2:3]
	v_fma_f64 v[98:99], v[142:143], s[14:15], -v[113:114]
	v_add_f64 v[96:97], v[98:99], v[96:97]
	v_fma_f64 v[98:99], v[146:147], s[22:23], v[122:123]
	s_delay_alu instid0(VALU_DEP_1) | instskip(SKIP_1) | instid1(VALU_DEP_1)
	v_add_f64 v[2:3], v[98:99], v[2:3]
	v_fma_f64 v[98:99], v[150:151], s[12:13], -v[125:126]
	;; [unrolled: 5-line block ×4, first 2 shown]
	v_add_f64 v[96:97], v[2:3], v[96:97]
	v_add_f64 v[2:3], v[44:45], v[52:53]
	;; [unrolled: 1-line block ×3, first 2 shown]
	s_delay_alu instid0(VALU_DEP_2) | instskip(NEXT) | instid1(VALU_DEP_2)
	v_add_f64 v[2:3], v[2:3], v[40:41]
	v_add_f64 v[40:41], v[44:45], v[42:43]
	s_delay_alu instid0(VALU_DEP_2) | instskip(NEXT) | instid1(VALU_DEP_2)
	v_add_f64 v[2:3], v[2:3], v[18:19]
	v_add_f64 v[18:19], v[40:41], v[38:39]
	;; [unrolled: 3-line block ×5, first 2 shown]
	v_fma_f64 v[14:15], v[150:151], s[12:13], v[125:126]
	s_delay_alu instid0(VALU_DEP_3) | instskip(NEXT) | instid1(VALU_DEP_3)
	v_add_f64 v[2:3], v[2:3], v[32:33]
	v_add_f64 v[12:13], v[12:13], v[16:17]
	s_delay_alu instid0(VALU_DEP_2) | instskip(NEXT) | instid1(VALU_DEP_2)
	v_add_f64 v[2:3], v[2:3], v[8:9]
	v_add_f64 v[8:9], v[12:13], v[10:11]
	v_fma_f64 v[12:13], v[146:147], s[38:39], v[122:123]
	v_fma_f64 v[10:11], v[142:143], s[14:15], v[113:114]
	s_delay_alu instid0(VALU_DEP_4) | instskip(NEXT) | instid1(VALU_DEP_4)
	v_add_f64 v[2:3], v[2:3], v[20:21]
	v_add_f64 v[8:9], v[8:9], v[22:23]
	s_delay_alu instid0(VALU_DEP_2) | instskip(NEXT) | instid1(VALU_DEP_2)
	v_add_f64 v[2:3], v[2:3], v[4:5]
	v_add_f64 v[6:7], v[8:9], v[6:7]
	v_fma_f64 v[8:9], v[137:138], s[36:37], v[111:112]
	s_delay_alu instid0(VALU_DEP_3) | instskip(NEXT) | instid1(VALU_DEP_3)
	v_add_f64 v[4:5], v[2:3], v[28:29]
	v_add_f64 v[2:3], v[6:7], v[30:31]
	s_delay_alu instid0(VALU_DEP_3) | instskip(SKIP_2) | instid1(VALU_DEP_3)
	v_add_f64 v[0:1], v[8:9], v[0:1]
	v_fma_f64 v[8:9], v[154:155], s[34:35], v[127:128]
	v_fma_f64 v[6:7], v[133:134], s[16:17], v[102:103]
	v_add_f64 v[0:1], v[12:13], v[0:1]
	v_fma_f64 v[12:13], v[164:165], s[40:41], v[131:132]
	s_delay_alu instid0(VALU_DEP_3) | instskip(NEXT) | instid1(VALU_DEP_3)
	v_add_f64 v[6:7], v[6:7], v[50:51]
	v_add_f64 v[0:1], v[8:9], v[0:1]
	s_delay_alu instid0(VALU_DEP_2) | instskip(SKIP_1) | instid1(VALU_DEP_3)
	v_add_f64 v[6:7], v[10:11], v[6:7]
	v_fma_f64 v[10:11], v[158:159], s[10:11], v[129:130]
	v_add_f64 v[8:9], v[12:13], v[0:1]
	scratch_load_b64 v[0:1], off, off       ; 8-byte Folded Reload
	v_add_f64 v[6:7], v[14:15], v[6:7]
	v_fma_f64 v[14:15], v[170:171], s[4:5], v[135:136]
	s_delay_alu instid0(VALU_DEP_2) | instskip(NEXT) | instid1(VALU_DEP_1)
	v_add_f64 v[6:7], v[10:11], v[6:7]
	v_add_f64 v[6:7], v[14:15], v[6:7]
	s_waitcnt vmcnt(0)
	v_lshrrev_b32_e32 v0, 2, v0
	s_delay_alu instid0(VALU_DEP_1) | instskip(NEXT) | instid1(VALU_DEP_1)
	v_mul_lo_u32 v0, v0, 52
	v_or_b32_e32 v0, v0, v117
	s_delay_alu instid0(VALU_DEP_1)
	v_lshl_add_u32 v0, v0, 4, 0
	ds_store_b128 v0, v[76:79] offset:128
	ds_store_b128 v0, v[80:83] offset:192
	;; [unrolled: 1-line block ×11, first 2 shown]
	ds_store_b128 v0, v[2:5]
	ds_store_b128 v0, v[6:9] offset:768
.LBB0_17:
	s_or_b32 exec_lo, exec_lo, s1
	s_waitcnt lgkmcnt(0)
	s_barrier
	buffer_gl0_inv
	s_clause 0x3
	scratch_load_b64 v[137:138], off, off offset:72
	scratch_load_b64 v[139:140], off, off offset:80
	;; [unrolled: 1-line block ×4, first 2 shown]
	v_mov_b32_e32 v117, 0
	v_lshl_add_u32 v220, v141, 4, 0
	s_mov_b32 s4, 0xe8584caa
	s_mov_b32 s5, 0x3febb67a
	;; [unrolled: 1-line block ×4, first 2 shown]
	s_add_u32 s1, s8, 0x4de0
	s_waitcnt vmcnt(3)
	v_and_b32_e32 v0, 0xff, v137
	s_waitcnt vmcnt(2)
	v_and_b32_e32 v1, 0xff, v139
	s_waitcnt vmcnt(1)
	v_and_b32_e32 v2, 0xffff, v170
	v_and_b32_e32 v3, 0xffff, v141
	s_waitcnt vmcnt(0)
	v_and_b32_e32 v4, 0xffff, v212
	v_mul_lo_u16 v0, 0x4f, v0
	v_mul_lo_u16 v1, 0x4f, v1
	v_mul_u32_u24_e32 v146, 0x4ec5, v2
	v_mul_u32_u24_e32 v140, 0x4ec5, v3
	;; [unrolled: 1-line block ×3, first 2 shown]
	v_lshrrev_b16 v0, 12, v0
	v_lshrrev_b16 v1, 12, v1
	v_lshrrev_b32_e32 v2, 20, v146
	v_lshrrev_b32_e32 v3, 20, v140
	;; [unrolled: 1-line block ×3, first 2 shown]
	v_mul_lo_u16 v0, v0, 52
	v_mul_lo_u16 v1, v1, 52
	;; [unrolled: 1-line block ×5, first 2 shown]
	v_sub_nc_u16 v0, v137, v0
	v_sub_nc_u16 v1, v139, v1
	;; [unrolled: 1-line block ×3, first 2 shown]
	v_lshlrev_b64 v[96:97], 4, v[116:117]
	v_sub_nc_u16 v3, v141, v3
	v_and_b32_e32 v0, 0xff, v0
	v_and_b32_e32 v1, 0xff, v1
	v_sub_nc_u16 v4, v212, v4
	v_dual_mov_b32 v171, v117 :: v_dual_and_b32 v2, 0xffff, v2
	v_add_co_u32 v98, s0, s8, v96
	v_lshlrev_b32_e32 v113, 4, v0
	v_and_b32_e32 v0, 0xffff, v3
	v_dual_mov_b32 v213, v117 :: v_dual_lshlrev_b32 v114, 4, v1
	v_and_b32_e32 v1, 0xffff, v4
	v_add_co_ci_u32_e64 v99, s0, s9, v97, s0
	v_lshlrev_b32_e32 v115, 4, v2
	v_lshlrev_b32_e32 v136, 4, v0
	s_delay_alu instid0(VALU_DEP_4)
	v_lshlrev_b32_e32 v138, 4, v1
	s_clause 0x3
	global_load_b128 v[16:19], v[98:99], off offset:800
	global_load_b128 v[20:23], v113, s[8:9] offset:800
	global_load_b128 v[24:27], v114, s[8:9] offset:800
	;; [unrolled: 1-line block ×3, first 2 shown]
	scratch_load_b64 v[214:215], off, off offset:28 ; 8-byte Folded Reload
	s_waitcnt vmcnt(0)
	v_mov_b32_e32 v215, v117
	s_clause 0x1
	global_load_b128 v[32:35], v136, s[8:9] offset:800
	global_load_b128 v[36:39], v138, s[8:9] offset:800
	scratch_load_b64 v[216:217], off, off offset:36 ; 8-byte Folded Reload
	s_waitcnt vmcnt(0)
	v_mov_b32_e32 v217, v117
	s_clause 0x1
	scratch_load_b64 v[218:219], off, off offset:44
	scratch_load_b64 v[221:222], off, off offset:8
	s_waitcnt vmcnt(1)
	v_dual_mov_b32 v219, v117 :: v_dual_and_b32 v0, 0xffff, v124
	v_lshl_add_u32 v225, v137, 4, 0
	v_lshl_add_u32 v224, v139, 4, 0
	;; [unrolled: 1-line block ×3, first 2 shown]
	s_delay_alu instid0(VALU_DEP_4) | instskip(SKIP_3) | instid1(VALU_DEP_3)
	v_mul_u32_u24_e32 v112, 0x4ec5, v0
	v_add_nc_u32_e32 v114, 0, v114
	s_waitcnt vmcnt(0)
	v_dual_mov_b32 v222, v117 :: v_dual_add_nc_u32 v115, 0, v115
	v_lshrrev_b32_e32 v4, 20, v112
	s_delay_alu instid0(VALU_DEP_1) | instskip(NEXT) | instid1(VALU_DEP_1)
	v_mul_lo_u16 v4, v4, 52
	v_sub_nc_u16 v4, v124, v4
	s_delay_alu instid0(VALU_DEP_1) | instskip(NEXT) | instid1(VALU_DEP_1)
	v_and_b32_e32 v4, 0xffff, v4
	v_lshlrev_b32_e32 v147, 4, v4
	global_load_b128 v[40:43], v147, s[8:9] offset:800
	v_and_b32_e32 v1, 0xffff, v214
	v_and_b32_e32 v2, 0xffff, v216
	;; [unrolled: 1-line block ×3, first 2 shown]
	s_delay_alu instid0(VALU_DEP_3) | instskip(SKIP_1) | instid1(VALU_DEP_4)
	v_mul_u32_u24_e32 v1, 0x4ec5, v1
	v_and_b32_e32 v3, 0xffff, v221
	v_mul_u32_u24_e32 v2, 0x4ec5, v2
	s_delay_alu instid0(VALU_DEP_4) | instskip(NEXT) | instid1(VALU_DEP_4)
	v_mul_u32_u24_e32 v0, 0x4ec5, v0
	v_lshrrev_b32_e32 v1, 20, v1
	s_delay_alu instid0(VALU_DEP_4) | instskip(NEXT) | instid1(VALU_DEP_4)
	v_mul_u32_u24_e32 v3, 0x4ec5, v3
	v_lshrrev_b32_e32 v2, 20, v2
	s_delay_alu instid0(VALU_DEP_4) | instskip(NEXT) | instid1(VALU_DEP_4)
	v_lshrrev_b32_e32 v0, 20, v0
	v_mul_lo_u16 v1, v1, 52
	s_delay_alu instid0(VALU_DEP_4) | instskip(NEXT) | instid1(VALU_DEP_4)
	v_lshrrev_b32_e32 v3, 20, v3
	v_mul_lo_u16 v2, v2, 52
	s_delay_alu instid0(VALU_DEP_4) | instskip(NEXT) | instid1(VALU_DEP_4)
	v_mul_lo_u16 v0, v0, 52
	v_sub_nc_u16 v1, v214, v1
	s_delay_alu instid0(VALU_DEP_4) | instskip(NEXT) | instid1(VALU_DEP_4)
	v_mul_lo_u16 v3, v3, 52
	v_sub_nc_u16 v2, v216, v2
	s_delay_alu instid0(VALU_DEP_4) | instskip(NEXT) | instid1(VALU_DEP_4)
	v_sub_nc_u16 v0, v218, v0
	v_and_b32_e32 v1, 0xffff, v1
	s_delay_alu instid0(VALU_DEP_4) | instskip(NEXT) | instid1(VALU_DEP_4)
	v_sub_nc_u16 v3, v221, v3
	v_and_b32_e32 v2, 0xffff, v2
	s_delay_alu instid0(VALU_DEP_4) | instskip(NEXT) | instid1(VALU_DEP_4)
	v_and_b32_e32 v0, 0xffff, v0
	v_lshlrev_b32_e32 v148, 4, v1
	s_delay_alu instid0(VALU_DEP_4) | instskip(NEXT) | instid1(VALU_DEP_4)
	v_and_b32_e32 v1, 0xffff, v3
	v_lshlrev_b32_e32 v149, 4, v2
	s_delay_alu instid0(VALU_DEP_4)
	v_lshlrev_b32_e32 v150, 4, v0
	global_load_b128 v[44:47], v148, s[8:9] offset:800
	v_lshlrev_b32_e32 v151, 4, v1
	s_clause 0x2
	global_load_b128 v[48:51], v149, s[8:9] offset:800
	global_load_b128 v[52:55], v150, s[8:9] offset:800
	;; [unrolled: 1-line block ×3, first 2 shown]
	ds_load_b128 v[60:63], v243 offset:9984
	ds_load_b128 v[64:67], v243 offset:10816
	;; [unrolled: 1-line block ×12, first 2 shown]
	scratch_load_b64 v[0:1], off, off       ; 8-byte Folded Reload
	ds_load_b128 v[12:15], v243
	ds_load_b128 v[4:7], v225
	s_waitcnt lgkmcnt(13)
	v_mul_f64 v[122:123], v[62:63], v[18:19]
	v_mul_f64 v[133:134], v[60:61], v[18:19]
	s_waitcnt lgkmcnt(12)
	v_mul_f64 v[142:143], v[66:67], v[18:19]
	v_mul_f64 v[18:19], v[64:65], v[18:19]
	;; [unrolled: 3-line block ×6, first 2 shown]
	s_waitcnt vmcnt(5) lgkmcnt(6)
	v_mul_f64 v[160:161], v[90:91], v[42:43]
	v_mul_f64 v[42:43], v[88:89], v[42:43]
	;; [unrolled: 1-line block ×4, first 2 shown]
	v_fma_f64 v[60:61], v[60:61], v[16:17], -v[122:123]
	v_fma_f64 v[62:63], v[62:63], v[16:17], v[133:134]
	v_fma_f64 v[64:65], v[64:65], v[16:17], -v[142:143]
	v_fma_f64 v[66:67], v[66:67], v[16:17], v[18:19]
	scratch_load_b32 v16, off, off offset:104 ; 4-byte Folded Reload
	v_fma_f64 v[72:73], v[72:73], v[24:25], -v[152:153]
	v_fma_f64 v[74:75], v[74:75], v[24:25], v[26:27]
	v_fma_f64 v[76:77], v[76:77], v[28:29], -v[154:155]
	v_fma_f64 v[78:79], v[78:79], v[28:29], v[30:31]
	;; [unrolled: 2-line block ×5, first 2 shown]
	ds_load_b128 v[32:35], v223
	ds_load_b128 v[24:27], v220
	v_fma_f64 v[68:69], v[68:69], v[20:21], -v[144:145]
	v_fma_f64 v[70:71], v[70:71], v[20:21], v[22:23]
	v_dual_mov_b32 v142, v117 :: v_dual_add_nc_u32 v113, 0, v113
	s_waitcnt lgkmcnt(3)
	v_add_f64 v[18:19], v[14:15], -v[62:63]
	s_delay_alu instid0(VALU_DEP_1)
	v_fma_f64 v[14:15], v[14:15], 2.0, -v[18:19]
	s_waitcnt vmcnt(5)
	v_mul_f64 v[162:163], v[94:95], v[46:47]
	v_mul_f64 v[46:47], v[92:93], v[46:47]
	s_waitcnt vmcnt(4)
	v_mul_f64 v[164:165], v[102:103], v[50:51]
	v_mul_f64 v[50:51], v[100:101], v[50:51]
	;; [unrolled: 3-line block ×3, first 2 shown]
	s_waitcnt vmcnt(1)
	v_mov_b32_e32 v135, v0
	ds_load_b128 v[0:3], v224
	v_mul_f64 v[168:169], v[131:132], v[58:59]
	v_mul_f64 v[58:59], v[129:130], v[58:59]
	v_lshl_add_u32 v226, v135, 4, 0
	ds_load_b128 v[8:11], v226
	s_waitcnt lgkmcnt(1)
	v_add_f64 v[62:63], v[2:3], -v[74:75]
	s_waitcnt lgkmcnt(0)
	v_add_f64 v[20:21], v[8:9], -v[64:65]
	v_add_f64 v[22:23], v[10:11], -v[66:67]
	v_fma_f64 v[92:93], v[92:93], v[44:45], -v[162:163]
	v_fma_f64 v[94:95], v[94:95], v[44:45], v[46:47]
	v_fma_f64 v[122:123], v[100:101], v[48:49], -v[164:165]
	v_fma_f64 v[133:134], v[102:103], v[48:49], v[50:51]
	;; [unrolled: 2-line block ×3, first 2 shown]
	v_add_f64 v[64:65], v[32:33], -v[76:77]
	v_add_f64 v[66:67], v[34:35], -v[78:79]
	v_fma_f64 v[129:130], v[129:130], v[56:57], -v[168:169]
	v_fma_f64 v[131:132], v[131:132], v[56:57], v[58:59]
	v_add_f64 v[56:57], v[4:5], -v[68:69]
	v_add_f64 v[58:59], v[6:7], -v[70:71]
	s_waitcnt vmcnt(0)
	v_add_nc_u32_e32 v105, v16, v104
	v_lshl_add_u32 v16, v124, 5, 0
	ds_load_b128 v[48:51], v105
	v_add_nc_u32_e32 v104, v16, v107
	scratch_load_b32 v16, off, off offset:108 ; 4-byte Folded Reload
	v_add_f64 v[68:69], v[24:25], -v[80:81]
	v_add_f64 v[70:71], v[26:27], -v[82:83]
	v_fma_f64 v[2:3], v[2:3], 2.0, -v[62:63]
	v_fma_f64 v[8:9], v[8:9], 2.0, -v[20:21]
	;; [unrolled: 1-line block ×3, first 2 shown]
	s_waitcnt lgkmcnt(0)
	v_add_f64 v[74:75], v[50:51], -v[86:87]
	v_fma_f64 v[32:33], v[32:33], 2.0, -v[64:65]
	v_fma_f64 v[34:35], v[34:35], 2.0, -v[66:67]
	;; [unrolled: 1-line block ×7, first 2 shown]
	s_waitcnt vmcnt(0)
	v_add_nc_u32_e32 v103, v16, v108
	scratch_load_b32 v16, off, off offset:112 ; 4-byte Folded Reload
	s_waitcnt vmcnt(0)
	v_add_nc_u32_e32 v102, v16, v109
	scratch_load_b32 v16, off, off offset:116 ; 4-byte Folded Reload
	;; [unrolled: 3-line block ×3, first 2 shown]
	v_lshrrev_b32_e32 v110, 21, v146
	s_delay_alu instid0(VALU_DEP_1)
	v_mul_lo_u16 v110, 0x68, v110
	s_waitcnt vmcnt(0)
	v_add_nc_u32_e32 v100, v16, v106
	ds_load_b128 v[52:55], v104
	ds_load_b128 v[44:47], v103
	;; [unrolled: 1-line block ×5, first 2 shown]
	s_clause 0x1
	scratch_load_b64 v[106:107], off, off offset:96
	scratch_load_b64 v[108:109], off, off offset:124
	v_add_f64 v[16:17], v[12:13], -v[60:61]
	v_add_f64 v[60:61], v[0:1], -v[72:73]
	;; [unrolled: 1-line block ×3, first 2 shown]
	s_waitcnt vmcnt(1)
	v_mov_b32_e32 v107, v117
	s_waitcnt vmcnt(0)
	v_mov_b32_e32 v109, v117
	s_waitcnt lgkmcnt(0)
	s_barrier
	buffer_gl0_inv
	v_add_f64 v[76:77], v[52:53], -v[88:89]
	v_add_f64 v[78:79], v[54:55], -v[90:91]
	;; [unrolled: 1-line block ×10, first 2 shown]
	v_lshrrev_b32_e32 v122, 21, v140
	v_add_nc_u32_e32 v123, 0, v136
	v_add_nc_u32_e32 v125, 0, v138
	;; [unrolled: 1-line block ×7, first 2 shown]
	v_mov_b32_e32 v136, v117
	v_mov_b32_e32 v138, v117
	;; [unrolled: 1-line block ×3, first 2 shown]
	v_fma_f64 v[12:13], v[12:13], 2.0, -v[16:17]
	v_fma_f64 v[0:1], v[0:1], 2.0, -v[60:61]
	;; [unrolled: 1-line block ×13, first 2 shown]
	ds_store_b128 v243, v[12:15]
	ds_store_b128 v243, v[16:19] offset:832
	ds_store_b128 v243, v[8:11] offset:1664
	;; [unrolled: 1-line block ×23, first 2 shown]
	v_lshrrev_b32_e32 v16, 21, v111
	v_mul_lo_u16 v17, 0x68, v122
	v_sub_nc_u16 v18, v170, v110
	v_lshrrev_b32_e32 v19, 21, v112
	s_waitcnt lgkmcnt(0)
	s_barrier
	buffer_gl0_inv
	v_mul_lo_u16 v16, 0x68, v16
	v_sub_nc_u16 v17, v141, v17
	v_and_b32_e32 v68, 0xffff, v18
	v_mul_lo_u16 v18, 0x68, v19
	v_lshlrev_b64 v[56:57], 4, v[135:136]
	v_sub_nc_u16 v16, v212, v16
	v_and_b32_e32 v69, 0xffff, v17
	v_lshlrev_b32_e32 v17, 5, v68
	v_sub_nc_u16 v18, v124, v18
	v_lshlrev_b64 v[54:55], 4, v[137:138]
	v_and_b32_e32 v70, 0xffff, v16
	v_lshlrev_b32_e32 v16, 5, v69
	v_lshlrev_b64 v[52:53], 4, v[139:140]
	v_and_b32_e32 v71, 0xffff, v18
	v_lshlrev_b64 v[50:51], 4, v[170:171]
	v_lshlrev_b64 v[48:49], 4, v[141:142]
	v_lshl_add_u32 v68, v68, 4, 0
	v_lshl_add_u32 v69, v69, 4, 0
	v_lshlrev_b32_e32 v40, 5, v71
	v_lshl_add_u32 v71, v71, 4, 0
	v_lshlrev_b64 v[106:107], 4, v[106:107]
	v_lshlrev_b64 v[108:109], 4, v[108:109]
	s_delay_alu instid0(VALU_DEP_2) | instskip(NEXT) | instid1(VALU_DEP_1)
	v_add_co_u32 v106, s0, s8, v106
	v_add_co_ci_u32_e64 v107, s0, s9, v107, s0
	s_delay_alu instid0(VALU_DEP_3) | instskip(NEXT) | instid1(VALU_DEP_1)
	v_add_co_u32 v12, s0, s8, v108
	v_add_co_ci_u32_e64 v13, s0, s9, v109, s0
	s_clause 0x5
	global_load_b128 v[0:3], v[106:107], off offset:1648
	global_load_b128 v[4:7], v[106:107], off offset:1632
	;; [unrolled: 1-line block ×4, first 2 shown]
	global_load_b128 v[32:35], v17, s[8:9] offset:1632
	global_load_b128 v[20:23], v17, s[8:9] offset:1648
	v_lshlrev_b32_e32 v17, 5, v70
	s_clause 0x5
	global_load_b128 v[36:39], v16, s[8:9] offset:1632
	global_load_b128 v[24:27], v16, s[8:9] offset:1648
	;; [unrolled: 1-line block ×6, first 2 shown]
	ds_load_b128 v[72:75], v103
	ds_load_b128 v[76:79], v243 offset:13312
	ds_load_b128 v[80:83], v243
	ds_load_b128 v[84:87], v243 offset:7488
	ds_load_b128 v[88:91], v243 offset:14144
	;; [unrolled: 1-line block ×8, first 2 shown]
	ds_load_b128 v[137:140], v104
	ds_load_b128 v[144:147], v243 offset:16640
	ds_load_b128 v[148:151], v243 offset:17472
	;; [unrolled: 1-line block ×6, first 2 shown]
	v_add_co_u32 v114, s0, 0x1000, v98
	s_delay_alu instid0(VALU_DEP_1) | instskip(SKIP_1) | instid1(VALU_DEP_1)
	v_add_co_ci_u32_e64 v115, s0, 0, v99, s0
	v_add_co_u32 v66, s0, s8, v56
	v_add_co_ci_u32_e64 v67, s0, s9, v57, s0
	v_add_co_u32 v58, s0, s8, v54
	s_delay_alu instid0(VALU_DEP_1) | instskip(SKIP_1) | instid1(VALU_DEP_1)
	v_add_co_ci_u32_e64 v59, s0, s9, v55, s0
	v_add_co_u32 v60, s0, s8, v52
	v_add_co_ci_u32_e64 v61, s0, s9, v53, s0
	;; [unrolled: 5-line block ×4, first 2 shown]
	v_lshl_add_u32 v70, v70, 4, 0
	s_waitcnt vmcnt(11) lgkmcnt(16)
	v_mul_f64 v[170:171], v[78:79], v[2:3]
	s_waitcnt vmcnt(10)
	v_mul_f64 v[141:142], v[74:75], v[6:7]
	v_mul_f64 v[168:169], v[72:73], v[6:7]
	;; [unrolled: 1-line block ×3, first 2 shown]
	s_waitcnt vmcnt(8) lgkmcnt(14)
	v_mul_f64 v[174:175], v[86:87], v[14:15]
	v_mul_f64 v[176:177], v[84:85], v[14:15]
	s_waitcnt lgkmcnt(13)
	v_mul_f64 v[178:179], v[90:91], v[10:11]
	v_mul_f64 v[180:181], v[88:89], v[10:11]
	s_waitcnt lgkmcnt(12)
	;; [unrolled: 3-line block ×3, first 2 shown]
	v_mul_f64 v[184:185], v[112:113], v[2:3]
	v_mul_f64 v[2:3], v[110:111], v[2:3]
	;; [unrolled: 1-line block ×4, first 2 shown]
	s_waitcnt lgkmcnt(9)
	v_mul_f64 v[188:189], v[127:128], v[10:11]
	v_mul_f64 v[10:11], v[125:126], v[10:11]
	s_waitcnt vmcnt(7) lgkmcnt(8)
	v_mul_f64 v[190:191], v[131:132], v[34:35]
	v_mul_f64 v[34:35], v[129:130], v[34:35]
	s_waitcnt vmcnt(6) lgkmcnt(5)
	v_mul_f64 v[192:193], v[146:147], v[22:23]
	v_mul_f64 v[22:23], v[144:145], v[22:23]
	s_waitcnt vmcnt(5)
	v_mul_f64 v[194:195], v[135:136], v[38:39]
	v_mul_f64 v[38:39], v[133:134], v[38:39]
	s_waitcnt vmcnt(4) lgkmcnt(4)
	v_mul_f64 v[196:197], v[150:151], v[26:27]
	v_mul_f64 v[26:27], v[148:149], v[26:27]
	s_waitcnt vmcnt(3) lgkmcnt(3)
	;; [unrolled: 3-line block ×3, first 2 shown]
	v_mul_f64 v[200:201], v[162:163], v[18:19]
	v_mul_f64 v[18:19], v[160:161], v[18:19]
	s_waitcnt vmcnt(1)
	v_mul_f64 v[202:203], v[158:159], v[46:47]
	v_mul_f64 v[46:47], v[156:157], v[46:47]
	s_waitcnt vmcnt(0) lgkmcnt(0)
	v_mul_f64 v[204:205], v[166:167], v[42:43]
	v_mul_f64 v[42:43], v[164:165], v[42:43]
	v_fma_f64 v[170:171], v[76:77], v[0:1], -v[170:171]
	v_fma_f64 v[141:142], v[72:73], v[4:5], -v[141:142]
	v_fma_f64 v[168:169], v[74:75], v[4:5], v[168:169]
	v_fma_f64 v[172:173], v[78:79], v[0:1], v[172:173]
	v_fma_f64 v[84:85], v[84:85], v[12:13], -v[174:175]
	v_fma_f64 v[86:87], v[86:87], v[12:13], v[176:177]
	v_fma_f64 v[88:89], v[88:89], v[8:9], -v[178:179]
	;; [unrolled: 2-line block ×14, first 2 shown]
	v_fma_f64 v[40:41], v[166:167], v[40:41], v[42:43]
	ds_load_b128 v[72:75], v226
	ds_load_b128 v[76:79], v225
	;; [unrolled: 1-line block ×6, first 2 shown]
	s_waitcnt lgkmcnt(0)
	s_barrier
	buffer_gl0_inv
	v_add_f64 v[46:47], v[141:142], v[170:171]
	v_add_f64 v[135:136], v[82:83], v[168:169]
	;; [unrolled: 1-line block ×4, first 2 shown]
	v_add_f64 v[133:134], v[168:169], -v[172:173]
	v_add_f64 v[147:148], v[84:85], v[88:89]
	v_add_f64 v[149:150], v[86:87], -v[90:91]
	v_add_f64 v[141:142], v[141:142], -v[170:171]
	v_add_f64 v[153:154], v[92:93], v[110:111]
	v_add_f64 v[157:158], v[94:95], v[112:113]
	v_add_f64 v[159:160], v[94:95], -v[112:113]
	v_add_f64 v[151:152], v[74:75], v[86:87]
	v_add_f64 v[86:87], v[86:87], v[90:91]
	v_add_f64 v[161:162], v[106:107], v[125:126]
	v_add_f64 v[163:164], v[108:109], v[127:128]
	v_add_f64 v[145:146], v[72:73], v[84:85]
	v_add_f64 v[165:166], v[129:130], v[34:35]
	v_add_f64 v[174:175], v[32:33], v[20:21]
	v_add_f64 v[155:156], v[76:77], v[92:93]
	v_add_f64 v[184:185], v[4:5], v[129:130]
	v_add_f64 v[178:179], v[22:23], v[38:39]
	v_add_f64 v[180:181], v[36:37], v[24:25]
	v_add_f64 v[188:189], v[32:33], -v[20:21]
	v_add_f64 v[32:33], v[6:7], v[32:33]
	v_add_f64 v[182:183], v[26:27], v[30:31]
	;; [unrolled: 1-line block ×4, first 2 shown]
	v_add_f64 v[84:85], v[84:85], -v[88:89]
	v_add_f64 v[190:191], v[16:17], v[44:45]
	v_add_f64 v[192:193], v[18:19], v[40:41]
	;; [unrolled: 1-line block ×7, first 2 shown]
	v_add_f64 v[92:93], v[92:93], -v[110:111]
	v_add_f64 v[167:168], v[0:1], v[106:107]
	v_fma_f64 v[46:47], v[46:47], -0.5, v[80:81]
	v_add_f64 v[176:177], v[108:109], -v[127:128]
	v_fma_f64 v[80:81], v[143:144], -0.5, v[82:83]
	v_add_f64 v[108:109], v[2:3], v[108:109]
	v_add_f64 v[106:107], v[106:107], -v[125:126]
	v_fma_f64 v[72:73], v[147:148], -0.5, v[72:73]
	v_add_f64 v[129:130], v[129:130], -v[34:35]
	v_add_f64 v[208:209], v[36:37], -v[24:25]
	;; [unrolled: 1-line block ×3, first 2 shown]
	v_fma_f64 v[76:77], v[153:154], -0.5, v[76:77]
	v_fma_f64 v[78:79], v[157:158], -0.5, v[78:79]
	v_add_f64 v[200:201], v[14:15], v[28:29]
	v_add_f64 v[147:148], v[28:29], -v[131:132]
	v_fma_f64 v[74:75], v[86:87], -0.5, v[74:75]
	v_fma_f64 v[82:83], v[161:162], -0.5, v[0:1]
	;; [unrolled: 1-line block ×3, first 2 shown]
	v_add_f64 v[2:3], v[135:136], v[172:173]
	v_fma_f64 v[135:136], v[165:166], -0.5, v[4:5]
	v_add_f64 v[4:5], v[145:146], v[88:89]
	v_fma_f64 v[145:146], v[174:175], -0.5, v[6:7]
	v_add_f64 v[6:7], v[151:152], v[90:91]
	v_fma_f64 v[151:152], v[178:179], -0.5, v[8:9]
	v_add_f64 v[8:9], v[155:156], v[110:111]
	v_fma_f64 v[155:156], v[180:181], -0.5, v[10:11]
	v_add_f64 v[210:211], v[26:27], -v[30:31]
	v_fma_f64 v[161:162], v[182:183], -0.5, v[12:13]
	v_fma_f64 v[163:164], v[186:187], -0.5, v[14:15]
	v_add_f64 v[153:154], v[18:19], -v[40:41]
	v_add_f64 v[157:158], v[16:17], -v[44:45]
	v_fma_f64 v[137:138], v[190:191], -0.5, v[137:138]
	v_fma_f64 v[139:140], v[192:193], -0.5, v[139:140]
	v_add_f64 v[0:1], v[42:43], v[170:171]
	v_add_f64 v[16:17], v[184:185], v[34:35]
	;; [unrolled: 1-line block ×7, first 2 shown]
	v_fma_f64 v[32:33], v[133:134], s[4:5], v[46:47]
	v_fma_f64 v[36:37], v[133:134], s[10:11], v[46:47]
	;; [unrolled: 1-line block ×4, first 2 shown]
	v_add_f64 v[28:29], v[202:203], v[44:45]
	v_fma_f64 v[40:41], v[149:150], s[4:5], v[72:73]
	v_fma_f64 v[44:45], v[149:150], s[10:11], v[72:73]
	v_add_f64 v[10:11], v[94:95], v[112:113]
	v_add_f64 v[12:13], v[167:168], v[125:126]
	v_fma_f64 v[72:73], v[159:160], s[4:5], v[76:77]
	v_fma_f64 v[76:77], v[159:160], s[10:11], v[76:77]
	v_add_f64 v[14:15], v[108:109], v[127:128]
	v_add_f64 v[26:27], v[200:201], v[131:132]
	v_fma_f64 v[42:43], v[84:85], s[10:11], v[74:75]
	v_fma_f64 v[46:47], v[84:85], s[4:5], v[74:75]
	;; [unrolled: 1-line block ×24, first 2 shown]
	v_add_co_u32 v141, s0, 0x1000, v60
	s_delay_alu instid0(VALU_DEP_1) | instskip(SKIP_1) | instid1(VALU_DEP_1)
	v_add_co_ci_u32_e64 v142, s0, 0, v61, s0
	v_add_co_u32 v143, s0, 0x1000, v62
	v_add_co_ci_u32_e64 v144, s0, 0, v63, s0
	ds_store_b128 v243, v[0:3]
	ds_store_b128 v243, v[32:35] offset:1664
	ds_store_b128 v243, v[36:39] offset:3328
	ds_store_b128 v226, v[4:7]
	ds_store_b128 v226, v[40:43] offset:1664
	ds_store_b128 v226, v[44:47] offset:3328
	ds_store_b128 v243, v[8:11] offset:4992
	ds_store_b128 v243, v[72:75] offset:6656
	ds_store_b128 v243, v[76:79] offset:8320
	ds_store_b128 v226, v[12:15] offset:4992
	ds_store_b128 v226, v[80:83] offset:6656
	ds_store_b128 v226, v[84:87] offset:8320
	ds_store_b128 v68, v[16:19] offset:9984
	ds_store_b128 v68, v[88:91] offset:11648
	ds_store_b128 v68, v[92:95] offset:13312
	ds_store_b128 v69, v[20:23] offset:9984
	ds_store_b128 v69, v[106:109] offset:11648
	ds_store_b128 v69, v[110:113] offset:13312
	ds_store_b128 v70, v[24:27] offset:14976
	ds_store_b128 v70, v[125:128] offset:16640
	ds_store_b128 v70, v[129:132] offset:18304
	ds_store_b128 v71, v[28:31] offset:14976
	ds_store_b128 v71, v[133:136] offset:16640
	ds_store_b128 v71, v[137:140] offset:18304
	s_waitcnt lgkmcnt(0)
	s_barrier
	buffer_gl0_inv
	s_clause 0x2
	global_load_b128 v[20:23], v[114:115], off offset:864
	global_load_b128 v[8:11], v[122:123], off offset:864
	;; [unrolled: 1-line block ×3, first 2 shown]
	v_add_co_u32 v16, s0, 0x1000, v64
	s_delay_alu instid0(VALU_DEP_1)
	v_add_co_ci_u32_e64 v17, s0, 0, v65, s0
	s_clause 0x2
	global_load_b128 v[12:15], v[141:142], off offset:864
	global_load_b128 v[4:7], v[143:144], off offset:864
	;; [unrolled: 1-line block ×3, first 2 shown]
	ds_load_b128 v[36:39], v243
	ds_load_b128 v[40:43], v243 offset:9984
	ds_load_b128 v[44:47], v243 offset:10816
	;; [unrolled: 1-line block ×7, first 2 shown]
	v_mov_b32_e32 v125, v117
	v_lshlrev_b64 v[34:35], 4, v[212:213]
	v_add_co_u32 v98, s0, 0x2000, v98
	s_delay_alu instid0(VALU_DEP_1) | instskip(NEXT) | instid1(VALU_DEP_4)
	v_add_co_ci_u32_e64 v99, s0, 0, v99, s0
	v_lshlrev_b64 v[32:33], 4, v[124:125]
	ds_load_b128 v[88:91], v243 offset:15808
	ds_load_b128 v[92:95], v243 offset:16640
	;; [unrolled: 1-line block ×4, first 2 shown]
	ds_load_b128 v[122:125], v226
	ds_load_b128 v[126:129], v243 offset:19136
	v_lshlrev_b64 v[30:31], 4, v[214:215]
	v_add_co_u32 v117, s0, s8, v34
	s_delay_alu instid0(VALU_DEP_1) | instskip(SKIP_2) | instid1(VALU_DEP_1)
	v_add_co_ci_u32_e64 v184, s0, s9, v35, s0
	v_lshlrev_b64 v[28:29], 4, v[216:217]
	v_add_co_u32 v185, s0, s8, v32
	v_add_co_ci_u32_e64 v186, s0, s9, v33, s0
	ds_load_b128 v[130:133], v225
	ds_load_b128 v[134:137], v224
	v_lshlrev_b64 v[26:27], 4, v[218:219]
	v_add_co_u32 v187, s0, s8, v30
	s_delay_alu instid0(VALU_DEP_1) | instskip(SKIP_2) | instid1(VALU_DEP_1)
	v_add_co_ci_u32_e64 v188, s0, s9, v31, s0
	v_lshlrev_b64 v[24:25], 4, v[221:222]
	v_add_co_u32 v189, s0, s8, v28
	v_add_co_ci_u32_e64 v190, s0, s9, v29, s0
	v_add_co_u32 v191, s0, s8, v26
	s_delay_alu instid0(VALU_DEP_1) | instskip(SKIP_1) | instid1(VALU_DEP_1)
	v_add_co_ci_u32_e64 v192, s0, s9, v27, s0
	v_add_co_u32 v193, s0, s8, v24
	v_add_co_ci_u32_e64 v194, s0, s9, v25, s0
	v_add_co_u32 v182, s0, 0x2000, v66
	s_delay_alu instid0(VALU_DEP_1)
	v_add_co_ci_u32_e64 v183, s0, 0, v67, s0
	s_addc_u32 s4, s9, 0
	s_mov_b32 s5, exec_lo
	s_waitcnt vmcnt(5) lgkmcnt(14)
	v_mul_f64 v[114:115], v[42:43], v[22:23]
	v_mul_f64 v[138:139], v[40:41], v[22:23]
	s_waitcnt vmcnt(4) lgkmcnt(13)
	v_mul_f64 v[140:141], v[46:47], v[10:11]
	v_mul_f64 v[142:143], v[44:45], v[10:11]
	s_waitcnt vmcnt(3) lgkmcnt(12)
	v_mul_f64 v[144:145], v[70:71], v[2:3]
	v_mul_f64 v[146:147], v[68:69], v[2:3]
	s_waitcnt vmcnt(2) lgkmcnt(11)
	v_mul_f64 v[148:149], v[74:75], v[14:15]
	v_mul_f64 v[150:151], v[72:73], v[14:15]
	s_waitcnt vmcnt(1) lgkmcnt(10)
	v_mul_f64 v[152:153], v[78:79], v[6:7]
	v_mul_f64 v[154:155], v[76:77], v[6:7]
	s_waitcnt vmcnt(0) lgkmcnt(9)
	v_mul_f64 v[156:157], v[82:83], v[18:19]
	v_mul_f64 v[158:159], v[80:81], v[18:19]
	s_waitcnt lgkmcnt(8)
	v_mul_f64 v[160:161], v[86:87], v[22:23]
	v_mul_f64 v[22:23], v[84:85], v[22:23]
	s_waitcnt lgkmcnt(7)
	v_mul_f64 v[162:163], v[90:91], v[10:11]
	v_mul_f64 v[10:11], v[88:89], v[10:11]
	;; [unrolled: 3-line block ×6, first 2 shown]
	v_fma_f64 v[114:115], v[40:41], v[20:21], -v[114:115]
	v_fma_f64 v[138:139], v[42:43], v[20:21], v[138:139]
	v_fma_f64 v[140:141], v[44:45], v[8:9], -v[140:141]
	v_fma_f64 v[142:143], v[46:47], v[8:9], v[142:143]
	v_fma_f64 v[144:145], v[68:69], v[0:1], -v[144:145]
	v_fma_f64 v[146:147], v[70:71], v[0:1], v[146:147]
	v_fma_f64 v[148:149], v[72:73], v[12:13], -v[148:149]
	v_fma_f64 v[150:151], v[74:75], v[12:13], v[150:151]
	v_fma_f64 v[152:153], v[76:77], v[4:5], -v[152:153]
	v_fma_f64 v[154:155], v[78:79], v[4:5], v[154:155]
	v_fma_f64 v[156:157], v[80:81], v[16:17], -v[156:157]
	v_fma_f64 v[158:159], v[82:83], v[16:17], v[158:159]
	v_fma_f64 v[160:161], v[84:85], v[20:21], -v[160:161]
	v_fma_f64 v[172:173], v[86:87], v[20:21], v[22:23]
	v_fma_f64 v[162:163], v[88:89], v[8:9], -v[162:163]
	v_fma_f64 v[174:175], v[90:91], v[8:9], v[10:11]
	v_fma_f64 v[164:165], v[92:93], v[0:1], -v[164:165]
	v_fma_f64 v[94:95], v[94:95], v[0:1], v[2:3]
	v_fma_f64 v[166:167], v[106:107], v[12:13], -v[166:167]
	v_fma_f64 v[176:177], v[108:109], v[12:13], v[14:15]
	v_fma_f64 v[168:169], v[110:111], v[4:5], -v[168:169]
	v_fma_f64 v[178:179], v[112:113], v[4:5], v[6:7]
	v_fma_f64 v[170:171], v[126:127], v[16:17], -v[170:171]
	v_fma_f64 v[180:181], v[128:129], v[16:17], v[18:19]
	ds_load_b128 v[0:3], v223
	ds_load_b128 v[4:7], v220
	ds_load_b128 v[8:11], v105
	ds_load_b128 v[12:15], v104
	ds_load_b128 v[16:19], v103
	ds_load_b128 v[20:23], v102
	ds_load_b128 v[40:43], v101
	ds_load_b128 v[44:47], v100
	s_waitcnt lgkmcnt(0)
	s_barrier
	buffer_gl0_inv
	v_add_f64 v[66:67], v[36:37], -v[114:115]
	v_add_f64 v[68:69], v[38:39], -v[138:139]
	v_add_f64 v[70:71], v[122:123], -v[140:141]
	v_add_f64 v[72:73], v[124:125], -v[142:143]
	v_add_f64 v[74:75], v[130:131], -v[144:145]
	v_add_f64 v[76:77], v[132:133], -v[146:147]
	v_add_f64 v[78:79], v[134:135], -v[148:149]
	v_add_f64 v[80:81], v[136:137], -v[150:151]
	v_add_f64 v[82:83], v[0:1], -v[152:153]
	v_add_f64 v[84:85], v[2:3], -v[154:155]
	v_add_f64 v[86:87], v[4:5], -v[156:157]
	v_add_f64 v[88:89], v[6:7], -v[158:159]
	v_add_f64 v[90:91], v[8:9], -v[160:161]
	v_add_f64 v[92:93], v[10:11], -v[172:173]
	v_add_f64 v[106:107], v[12:13], -v[162:163]
	v_add_f64 v[108:109], v[14:15], -v[174:175]
	v_add_f64 v[110:111], v[16:17], -v[164:165]
	v_add_f64 v[112:113], v[18:19], -v[94:95]
	v_add_f64 v[126:127], v[20:21], -v[166:167]
	v_add_f64 v[128:129], v[22:23], -v[176:177]
	v_add_f64 v[138:139], v[40:41], -v[168:169]
	v_add_f64 v[140:141], v[42:43], -v[178:179]
	v_add_f64 v[142:143], v[44:45], -v[170:171]
	v_add_f64 v[144:145], v[46:47], -v[180:181]
	v_add_co_u32 v94, s0, 0x2000, v58
	s_delay_alu instid0(VALU_DEP_1) | instskip(SKIP_1) | instid1(VALU_DEP_1)
	v_add_co_ci_u32_e64 v95, s0, 0, v59, s0
	v_add_co_u32 v114, s0, 0x2000, v60
	v_add_co_ci_u32_e64 v115, s0, 0, v61, s0
	v_add_co_u32 v146, s0, 0x2000, v62
	s_delay_alu instid0(VALU_DEP_1)
	v_add_co_ci_u32_e64 v147, s0, 0, v63, s0
	v_add_co_u32 v148, s0, 0x2000, v64
	v_fma_f64 v[36:37], v[36:37], 2.0, -v[66:67]
	v_fma_f64 v[38:39], v[38:39], 2.0, -v[68:69]
	;; [unrolled: 1-line block ×4, first 2 shown]
	v_add_co_ci_u32_e64 v149, s0, 0, v65, s0
	v_fma_f64 v[62:63], v[130:131], 2.0, -v[74:75]
	v_fma_f64 v[64:65], v[132:133], 2.0, -v[76:77]
	;; [unrolled: 1-line block ×20, first 2 shown]
	v_add_co_u32 v130, s0, 0x2000, v117
	ds_store_b128 v243, v[36:39]
	ds_store_b128 v243, v[66:69] offset:4992
	ds_store_b128 v226, v[58:61]
	ds_store_b128 v226, v[70:73] offset:4992
	;; [unrolled: 2-line block ×6, first 2 shown]
	ds_store_b128 v243, v[8:11] offset:9984
	ds_store_b128 v243, v[90:93] offset:14976
	;; [unrolled: 1-line block ×12, first 2 shown]
	s_waitcnt lgkmcnt(0)
	s_barrier
	buffer_gl0_inv
	global_load_b128 v[0:3], v[98:99], off offset:1760
	v_add_co_ci_u32_e64 v131, s0, 0, v184, s0
	v_add_co_u32 v132, s0, 0x2000, v185
	s_delay_alu instid0(VALU_DEP_1)
	v_add_co_ci_u32_e64 v133, s0, 0, v186, s0
	s_clause 0x3
	global_load_b128 v[4:7], v[182:183], off offset:1760
	global_load_b128 v[8:11], v[94:95], off offset:1760
	;; [unrolled: 1-line block ×4, first 2 shown]
	v_add_co_u32 v134, s0, 0x2000, v187
	s_delay_alu instid0(VALU_DEP_1) | instskip(SKIP_1) | instid1(VALU_DEP_1)
	v_add_co_ci_u32_e64 v135, s0, 0, v188, s0
	v_add_co_u32 v58, s0, 0x2000, v189
	v_add_co_ci_u32_e64 v59, s0, 0, v190, s0
	v_add_co_u32 v62, s0, 0x2000, v191
	s_clause 0x3
	global_load_b128 v[20:23], v[148:149], off offset:1760
	global_load_b128 v[36:39], v[130:131], off offset:1760
	;; [unrolled: 1-line block ×4, first 2 shown]
	v_add_co_ci_u32_e64 v63, s0, 0, v192, s0
	v_add_co_u32 v66, s0, 0x2000, v193
	s_delay_alu instid0(VALU_DEP_1)
	v_add_co_ci_u32_e64 v67, s0, 0, v194, s0
	s_clause 0x2
	global_load_b128 v[58:61], v[58:59], off offset:1760
	global_load_b128 v[62:65], v[62:63], off offset:1760
	;; [unrolled: 1-line block ×3, first 2 shown]
	ds_load_b128 v[70:73], v243 offset:9984
	ds_load_b128 v[74:77], v243 offset:10816
	ds_load_b128 v[78:81], v243 offset:11648
	ds_load_b128 v[82:85], v243 offset:12480
	ds_load_b128 v[86:89], v243 offset:13312
	ds_load_b128 v[90:93], v243 offset:14144
	ds_load_b128 v[106:109], v243 offset:14976
	ds_load_b128 v[110:113], v243 offset:15808
	ds_load_b128 v[122:125], v243 offset:16640
	ds_load_b128 v[126:129], v243 offset:17472
	ds_load_b128 v[130:133], v243 offset:18304
	ds_load_b128 v[134:137], v243 offset:19136
	ds_load_b128 v[138:141], v243
	ds_load_b128 v[142:145], v226
	s_waitcnt vmcnt(11) lgkmcnt(13)
	v_mul_f64 v[94:95], v[72:73], v[2:3]
	v_mul_f64 v[2:3], v[70:71], v[2:3]
	s_waitcnt vmcnt(10) lgkmcnt(12)
	v_mul_f64 v[98:99], v[76:77], v[6:7]
	v_mul_f64 v[6:7], v[74:75], v[6:7]
	;; [unrolled: 3-line block ×12, first 2 shown]
	v_fma_f64 v[70:71], v[70:71], v[0:1], -v[94:95]
	v_fma_f64 v[72:73], v[72:73], v[0:1], v[2:3]
	ds_load_b128 v[0:3], v225
	v_fma_f64 v[74:75], v[74:75], v[4:5], -v[98:99]
	v_fma_f64 v[76:77], v[76:77], v[4:5], v[6:7]
	v_fma_f64 v[78:79], v[78:79], v[8:9], -v[114:115]
	v_fma_f64 v[80:81], v[80:81], v[8:9], v[10:11]
	;; [unrolled: 2-line block ×11, first 2 shown]
	ds_load_b128 v[4:7], v224
	ds_load_b128 v[8:11], v223
	;; [unrolled: 1-line block ×9, first 2 shown]
	s_waitcnt lgkmcnt(0)
	s_barrier
	buffer_gl0_inv
	v_add_f64 v[62:63], v[138:139], -v[70:71]
	v_add_f64 v[64:65], v[140:141], -v[72:73]
	;; [unrolled: 1-line block ×24, first 2 shown]
	v_fma_f64 v[130:131], v[138:139], 2.0, -v[62:63]
	v_fma_f64 v[132:133], v[140:141], 2.0, -v[64:65]
	;; [unrolled: 1-line block ×24, first 2 shown]
	ds_store_b128 v243, v[130:133]
	ds_store_b128 v243, v[62:65] offset:9984
	ds_store_b128 v226, v[134:137]
	ds_store_b128 v226, v[66:69] offset:9984
	;; [unrolled: 2-line block ×12, first 2 shown]
	s_waitcnt lgkmcnt(0)
	s_barrier
	buffer_gl0_inv
	scratch_load_b32 v0, off, off offset:16 ; 4-byte Folded Reload
	ds_load_b128 v[8:11], v243
                                        ; implicit-def: $vgpr2_vgpr3
                                        ; implicit-def: $vgpr6_vgpr7
	s_waitcnt vmcnt(0)
	v_sub_nc_u32_e32 v12, 0, v0
	v_cmpx_ne_u32_e32 0, v116
	s_xor_b32 s5, exec_lo, s5
	s_cbranch_execz .LBB0_19
; %bb.18:
	v_add_co_u32 v0, s0, s1, v96
	s_delay_alu instid0(VALU_DEP_1)
	v_add_co_ci_u32_e64 v1, s0, s4, v97, s0
	ds_load_b128 v[13:16], v12 offset:19968
	global_load_b128 v[2:5], v[0:1], off
	s_waitcnt lgkmcnt(0)
	v_add_f64 v[0:1], v[8:9], -v[13:14]
	v_add_f64 v[6:7], v[10:11], v[15:16]
	v_add_f64 v[10:11], v[10:11], -v[15:16]
	s_delay_alu instid0(VALU_DEP_3) | instskip(SKIP_1) | instid1(VALU_DEP_4)
	v_mul_f64 v[15:16], v[0:1], 0.5
	v_add_f64 v[0:1], v[8:9], v[13:14]
	v_mul_f64 v[8:9], v[6:7], 0.5
	s_delay_alu instid0(VALU_DEP_4) | instskip(SKIP_1) | instid1(VALU_DEP_4)
	v_mul_f64 v[6:7], v[10:11], 0.5
	s_waitcnt vmcnt(0)
	v_mul_f64 v[10:11], v[15:16], v[4:5]
	s_delay_alu instid0(VALU_DEP_2) | instskip(NEXT) | instid1(VALU_DEP_2)
	v_fma_f64 v[13:14], v[8:9], v[4:5], v[6:7]
	v_fma_f64 v[17:18], v[0:1], 0.5, v[10:11]
	v_fma_f64 v[0:1], v[0:1], 0.5, -v[10:11]
	v_fma_f64 v[10:11], v[8:9], v[4:5], -v[6:7]
	s_delay_alu instid0(VALU_DEP_4) | instskip(NEXT) | instid1(VALU_DEP_4)
	v_fma_f64 v[6:7], -v[2:3], v[15:16], v[13:14]
	v_fma_f64 v[4:5], v[8:9], v[2:3], v[17:18]
	s_delay_alu instid0(VALU_DEP_4) | instskip(NEXT) | instid1(VALU_DEP_4)
	v_fma_f64 v[0:1], -v[8:9], v[2:3], v[0:1]
	v_fma_f64 v[2:3], -v[2:3], v[15:16], v[10:11]
                                        ; implicit-def: $vgpr8_vgpr9
.LBB0_19:
	s_and_not1_saveexec_b32 s0, s5
	s_cbranch_execz .LBB0_21
; %bb.20:
	s_waitcnt lgkmcnt(0)
	v_add_f64 v[4:5], v[8:9], v[10:11]
	v_add_f64 v[0:1], v[8:9], -v[10:11]
	v_mov_b32_e32 v10, 0
	v_mov_b32_e32 v6, 0
	v_mov_b32_e32 v7, 0
	s_delay_alu instid0(VALU_DEP_2)
	v_mov_b32_e32 v2, v6
	ds_load_b64 v[8:9], v10 offset:9992
	v_mov_b32_e32 v3, v7
	s_waitcnt lgkmcnt(0)
	v_xor_b32_e32 v9, 0x80000000, v9
	ds_store_b64 v10, v[8:9] offset:9992
.LBB0_21:
	s_or_b32 exec_lo, exec_lo, s0
	s_waitcnt lgkmcnt(0)
	v_add_co_u32 v8, s0, s1, v56
	s_delay_alu instid0(VALU_DEP_1) | instskip(SKIP_1) | instid1(VALU_DEP_1)
	v_add_co_ci_u32_e64 v9, s0, s4, v57, s0
	v_add_co_u32 v13, s0, s1, v54
	v_add_co_ci_u32_e64 v14, s0, s4, v55, s0
	s_clause 0x1
	global_load_b128 v[8:11], v[8:9], off
	global_load_b128 v[13:16], v[13:14], off
	ds_store_b128 v243, v[4:7]
	ds_store_b128 v12, v[0:3] offset:19968
	scratch_load_b32 v23, off, off offset:68 ; 4-byte Folded Reload
	s_waitcnt vmcnt(0)
	ds_load_b128 v[0:3], v23
	ds_load_b128 v[4:7], v12 offset:19136
	s_waitcnt lgkmcnt(0)
	v_add_f64 v[17:18], v[0:1], -v[4:5]
	v_add_f64 v[19:20], v[2:3], v[6:7]
	v_add_f64 v[2:3], v[2:3], -v[6:7]
	v_add_f64 v[0:1], v[0:1], v[4:5]
	s_delay_alu instid0(VALU_DEP_4) | instskip(NEXT) | instid1(VALU_DEP_4)
	v_mul_f64 v[6:7], v[17:18], 0.5
	v_mul_f64 v[17:18], v[19:20], 0.5
	s_delay_alu instid0(VALU_DEP_4) | instskip(NEXT) | instid1(VALU_DEP_3)
	v_mul_f64 v[2:3], v[2:3], 0.5
	v_mul_f64 v[4:5], v[6:7], v[10:11]
	s_delay_alu instid0(VALU_DEP_2) | instskip(SKIP_1) | instid1(VALU_DEP_3)
	v_fma_f64 v[19:20], v[17:18], v[10:11], v[2:3]
	v_fma_f64 v[10:11], v[17:18], v[10:11], -v[2:3]
	v_fma_f64 v[21:22], v[0:1], 0.5, v[4:5]
	v_fma_f64 v[4:5], v[0:1], 0.5, -v[4:5]
	s_delay_alu instid0(VALU_DEP_4) | instskip(NEXT) | instid1(VALU_DEP_4)
	v_fma_f64 v[2:3], -v[8:9], v[6:7], v[19:20]
	v_fma_f64 v[6:7], -v[8:9], v[6:7], v[10:11]
	s_delay_alu instid0(VALU_DEP_4) | instskip(NEXT) | instid1(VALU_DEP_4)
	v_fma_f64 v[0:1], v[17:18], v[8:9], v[21:22]
	v_fma_f64 v[4:5], -v[17:18], v[8:9], v[4:5]
	v_add_co_u32 v8, s0, s1, v52
	s_delay_alu instid0(VALU_DEP_1)
	v_add_co_ci_u32_e64 v9, s0, s4, v53, s0
	global_load_b128 v[8:11], v[8:9], off
	ds_store_b128 v23, v[0:3]
	ds_store_b128 v12, v[4:7] offset:19136
	scratch_load_b32 v23, off, off offset:64 ; 4-byte Folded Reload
	s_waitcnt vmcnt(0)
	ds_load_b128 v[0:3], v23
	ds_load_b128 v[4:7], v12 offset:18304
	s_waitcnt lgkmcnt(0)
	v_add_f64 v[17:18], v[0:1], -v[4:5]
	v_add_f64 v[19:20], v[2:3], v[6:7]
	v_add_f64 v[2:3], v[2:3], -v[6:7]
	v_add_f64 v[0:1], v[0:1], v[4:5]
	s_delay_alu instid0(VALU_DEP_4) | instskip(NEXT) | instid1(VALU_DEP_4)
	v_mul_f64 v[6:7], v[17:18], 0.5
	v_mul_f64 v[17:18], v[19:20], 0.5
	s_delay_alu instid0(VALU_DEP_4) | instskip(NEXT) | instid1(VALU_DEP_3)
	v_mul_f64 v[2:3], v[2:3], 0.5
	v_mul_f64 v[4:5], v[6:7], v[15:16]
	s_delay_alu instid0(VALU_DEP_2) | instskip(SKIP_1) | instid1(VALU_DEP_3)
	v_fma_f64 v[19:20], v[17:18], v[15:16], v[2:3]
	v_fma_f64 v[15:16], v[17:18], v[15:16], -v[2:3]
	v_fma_f64 v[21:22], v[0:1], 0.5, v[4:5]
	v_fma_f64 v[4:5], v[0:1], 0.5, -v[4:5]
	s_delay_alu instid0(VALU_DEP_4) | instskip(NEXT) | instid1(VALU_DEP_4)
	v_fma_f64 v[2:3], -v[13:14], v[6:7], v[19:20]
	v_fma_f64 v[6:7], -v[13:14], v[6:7], v[15:16]
	s_delay_alu instid0(VALU_DEP_4) | instskip(NEXT) | instid1(VALU_DEP_4)
	v_fma_f64 v[0:1], v[17:18], v[13:14], v[21:22]
	v_fma_f64 v[4:5], -v[17:18], v[13:14], v[4:5]
	v_add_co_u32 v13, s0, s1, v50
	s_delay_alu instid0(VALU_DEP_1)
	v_add_co_ci_u32_e64 v14, s0, s4, v51, s0
	;; [unrolled: 32-line block ×5, first 2 shown]
	global_load_b128 v[8:11], v[8:9], off
	ds_store_b128 v23, v[0:3]
	ds_store_b128 v12, v[4:7] offset:15808
	ds_load_b128 v[0:3], v105
	ds_load_b128 v[4:7], v12 offset:14976
	s_waitcnt lgkmcnt(0)
	v_add_f64 v[17:18], v[0:1], -v[4:5]
	v_add_f64 v[19:20], v[2:3], v[6:7]
	v_add_f64 v[2:3], v[2:3], -v[6:7]
	v_add_f64 v[0:1], v[0:1], v[4:5]
	s_delay_alu instid0(VALU_DEP_4) | instskip(NEXT) | instid1(VALU_DEP_4)
	v_mul_f64 v[6:7], v[17:18], 0.5
	v_mul_f64 v[17:18], v[19:20], 0.5
	s_delay_alu instid0(VALU_DEP_4) | instskip(NEXT) | instid1(VALU_DEP_3)
	v_mul_f64 v[2:3], v[2:3], 0.5
	v_mul_f64 v[4:5], v[6:7], v[15:16]
	s_delay_alu instid0(VALU_DEP_2) | instskip(SKIP_1) | instid1(VALU_DEP_3)
	v_fma_f64 v[19:20], v[17:18], v[15:16], v[2:3]
	v_fma_f64 v[15:16], v[17:18], v[15:16], -v[2:3]
	v_fma_f64 v[21:22], v[0:1], 0.5, v[4:5]
	v_fma_f64 v[4:5], v[0:1], 0.5, -v[4:5]
	s_delay_alu instid0(VALU_DEP_4) | instskip(NEXT) | instid1(VALU_DEP_4)
	v_fma_f64 v[2:3], -v[13:14], v[6:7], v[19:20]
	v_fma_f64 v[6:7], -v[13:14], v[6:7], v[15:16]
	s_delay_alu instid0(VALU_DEP_4) | instskip(NEXT) | instid1(VALU_DEP_4)
	v_fma_f64 v[0:1], v[17:18], v[13:14], v[21:22]
	v_fma_f64 v[4:5], -v[17:18], v[13:14], v[4:5]
	v_add_co_u32 v13, s0, s1, v30
	s_delay_alu instid0(VALU_DEP_1)
	v_add_co_ci_u32_e64 v14, s0, s4, v31, s0
	global_load_b128 v[13:16], v[13:14], off
	ds_store_b128 v105, v[0:3]
	ds_store_b128 v12, v[4:7] offset:14976
	ds_load_b128 v[0:3], v104
	ds_load_b128 v[4:7], v12 offset:14144
	s_waitcnt lgkmcnt(0)
	v_add_f64 v[17:18], v[0:1], -v[4:5]
	v_add_f64 v[19:20], v[2:3], v[6:7]
	v_add_f64 v[2:3], v[2:3], -v[6:7]
	v_add_f64 v[0:1], v[0:1], v[4:5]
	s_delay_alu instid0(VALU_DEP_4) | instskip(NEXT) | instid1(VALU_DEP_4)
	v_mul_f64 v[6:7], v[17:18], 0.5
	v_mul_f64 v[17:18], v[19:20], 0.5
	s_delay_alu instid0(VALU_DEP_4) | instskip(SKIP_1) | instid1(VALU_DEP_3)
	v_mul_f64 v[2:3], v[2:3], 0.5
	s_waitcnt vmcnt(1)
	v_mul_f64 v[4:5], v[6:7], v[10:11]
	s_delay_alu instid0(VALU_DEP_2) | instskip(SKIP_1) | instid1(VALU_DEP_3)
	v_fma_f64 v[19:20], v[17:18], v[10:11], v[2:3]
	v_fma_f64 v[10:11], v[17:18], v[10:11], -v[2:3]
	v_fma_f64 v[21:22], v[0:1], 0.5, v[4:5]
	v_fma_f64 v[4:5], v[0:1], 0.5, -v[4:5]
	s_delay_alu instid0(VALU_DEP_4) | instskip(NEXT) | instid1(VALU_DEP_4)
	v_fma_f64 v[2:3], -v[8:9], v[6:7], v[19:20]
	v_fma_f64 v[6:7], -v[8:9], v[6:7], v[10:11]
	s_delay_alu instid0(VALU_DEP_4) | instskip(NEXT) | instid1(VALU_DEP_4)
	v_fma_f64 v[0:1], v[17:18], v[8:9], v[21:22]
	v_fma_f64 v[4:5], -v[17:18], v[8:9], v[4:5]
	v_add_co_u32 v8, s0, s1, v28
	s_delay_alu instid0(VALU_DEP_1)
	v_add_co_ci_u32_e64 v9, s0, s4, v29, s0
	global_load_b128 v[8:11], v[8:9], off
	ds_store_b128 v104, v[0:3]
	ds_store_b128 v12, v[4:7] offset:14144
	ds_load_b128 v[0:3], v103
	ds_load_b128 v[4:7], v12 offset:13312
	s_waitcnt lgkmcnt(0)
	v_add_f64 v[17:18], v[0:1], -v[4:5]
	v_add_f64 v[19:20], v[2:3], v[6:7]
	v_add_f64 v[2:3], v[2:3], -v[6:7]
	v_add_f64 v[0:1], v[0:1], v[4:5]
	s_delay_alu instid0(VALU_DEP_4) | instskip(NEXT) | instid1(VALU_DEP_4)
	v_mul_f64 v[6:7], v[17:18], 0.5
	v_mul_f64 v[17:18], v[19:20], 0.5
	s_delay_alu instid0(VALU_DEP_4) | instskip(SKIP_1) | instid1(VALU_DEP_3)
	v_mul_f64 v[2:3], v[2:3], 0.5
	s_waitcnt vmcnt(1)
	v_mul_f64 v[4:5], v[6:7], v[15:16]
	s_delay_alu instid0(VALU_DEP_2) | instskip(SKIP_1) | instid1(VALU_DEP_3)
	v_fma_f64 v[19:20], v[17:18], v[15:16], v[2:3]
	v_fma_f64 v[15:16], v[17:18], v[15:16], -v[2:3]
	v_fma_f64 v[21:22], v[0:1], 0.5, v[4:5]
	v_fma_f64 v[4:5], v[0:1], 0.5, -v[4:5]
	s_delay_alu instid0(VALU_DEP_4) | instskip(NEXT) | instid1(VALU_DEP_4)
	v_fma_f64 v[2:3], -v[13:14], v[6:7], v[19:20]
	v_fma_f64 v[6:7], -v[13:14], v[6:7], v[15:16]
	s_delay_alu instid0(VALU_DEP_4) | instskip(NEXT) | instid1(VALU_DEP_4)
	v_fma_f64 v[0:1], v[17:18], v[13:14], v[21:22]
	v_fma_f64 v[4:5], -v[17:18], v[13:14], v[4:5]
	v_add_co_u32 v13, s0, s1, v26
	s_delay_alu instid0(VALU_DEP_1)
	v_add_co_ci_u32_e64 v14, s0, s4, v27, s0
	global_load_b128 v[13:16], v[13:14], off
	ds_store_b128 v103, v[0:3]
	ds_store_b128 v12, v[4:7] offset:13312
	ds_load_b128 v[0:3], v102
	ds_load_b128 v[4:7], v12 offset:12480
	s_waitcnt lgkmcnt(0)
	v_add_f64 v[17:18], v[0:1], -v[4:5]
	v_add_f64 v[19:20], v[2:3], v[6:7]
	v_add_f64 v[2:3], v[2:3], -v[6:7]
	v_add_f64 v[0:1], v[0:1], v[4:5]
	s_delay_alu instid0(VALU_DEP_4) | instskip(NEXT) | instid1(VALU_DEP_4)
	v_mul_f64 v[6:7], v[17:18], 0.5
	v_mul_f64 v[17:18], v[19:20], 0.5
	s_delay_alu instid0(VALU_DEP_4) | instskip(SKIP_1) | instid1(VALU_DEP_3)
	v_mul_f64 v[2:3], v[2:3], 0.5
	s_waitcnt vmcnt(1)
	v_mul_f64 v[4:5], v[6:7], v[10:11]
	s_delay_alu instid0(VALU_DEP_2) | instskip(SKIP_1) | instid1(VALU_DEP_3)
	v_fma_f64 v[19:20], v[17:18], v[10:11], v[2:3]
	v_fma_f64 v[10:11], v[17:18], v[10:11], -v[2:3]
	v_fma_f64 v[21:22], v[0:1], 0.5, v[4:5]
	v_fma_f64 v[4:5], v[0:1], 0.5, -v[4:5]
	s_delay_alu instid0(VALU_DEP_4) | instskip(NEXT) | instid1(VALU_DEP_4)
	v_fma_f64 v[2:3], -v[8:9], v[6:7], v[19:20]
	v_fma_f64 v[6:7], -v[8:9], v[6:7], v[10:11]
	s_delay_alu instid0(VALU_DEP_4) | instskip(NEXT) | instid1(VALU_DEP_4)
	v_fma_f64 v[0:1], v[17:18], v[8:9], v[21:22]
	v_fma_f64 v[4:5], -v[17:18], v[8:9], v[4:5]
	v_add_co_u32 v8, s0, s1, v24
	s_delay_alu instid0(VALU_DEP_1)
	v_add_co_ci_u32_e64 v9, s0, s4, v25, s0
	global_load_b128 v[8:11], v[8:9], off
	ds_store_b128 v102, v[0:3]
	ds_store_b128 v12, v[4:7] offset:12480
	ds_load_b128 v[0:3], v101
	ds_load_b128 v[4:7], v12 offset:11648
	s_waitcnt lgkmcnt(0)
	v_add_f64 v[17:18], v[0:1], -v[4:5]
	v_add_f64 v[19:20], v[2:3], v[6:7]
	v_add_f64 v[2:3], v[2:3], -v[6:7]
	v_add_f64 v[0:1], v[0:1], v[4:5]
	s_delay_alu instid0(VALU_DEP_4) | instskip(NEXT) | instid1(VALU_DEP_4)
	v_mul_f64 v[6:7], v[17:18], 0.5
	v_mul_f64 v[17:18], v[19:20], 0.5
	s_delay_alu instid0(VALU_DEP_4) | instskip(SKIP_1) | instid1(VALU_DEP_3)
	v_mul_f64 v[2:3], v[2:3], 0.5
	s_waitcnt vmcnt(1)
	v_mul_f64 v[4:5], v[6:7], v[15:16]
	s_delay_alu instid0(VALU_DEP_2) | instskip(SKIP_1) | instid1(VALU_DEP_3)
	v_fma_f64 v[19:20], v[17:18], v[15:16], v[2:3]
	v_fma_f64 v[15:16], v[17:18], v[15:16], -v[2:3]
	v_fma_f64 v[21:22], v[0:1], 0.5, v[4:5]
	v_fma_f64 v[4:5], v[0:1], 0.5, -v[4:5]
	s_delay_alu instid0(VALU_DEP_4) | instskip(NEXT) | instid1(VALU_DEP_4)
	v_fma_f64 v[2:3], -v[13:14], v[6:7], v[19:20]
	v_fma_f64 v[6:7], -v[13:14], v[6:7], v[15:16]
	s_delay_alu instid0(VALU_DEP_4) | instskip(NEXT) | instid1(VALU_DEP_4)
	v_fma_f64 v[0:1], v[17:18], v[13:14], v[21:22]
	v_fma_f64 v[4:5], -v[17:18], v[13:14], v[4:5]
	ds_store_b128 v101, v[0:3]
	ds_store_b128 v12, v[4:7] offset:11648
	ds_load_b128 v[0:3], v100
	ds_load_b128 v[4:7], v12 offset:10816
	s_waitcnt lgkmcnt(0)
	v_add_f64 v[13:14], v[0:1], -v[4:5]
	v_add_f64 v[15:16], v[2:3], v[6:7]
	v_add_f64 v[2:3], v[2:3], -v[6:7]
	v_add_f64 v[0:1], v[0:1], v[4:5]
	s_delay_alu instid0(VALU_DEP_4) | instskip(NEXT) | instid1(VALU_DEP_4)
	v_mul_f64 v[6:7], v[13:14], 0.5
	v_mul_f64 v[13:14], v[15:16], 0.5
	s_delay_alu instid0(VALU_DEP_4) | instskip(SKIP_1) | instid1(VALU_DEP_3)
	v_mul_f64 v[2:3], v[2:3], 0.5
	s_waitcnt vmcnt(0)
	v_mul_f64 v[4:5], v[6:7], v[10:11]
	s_delay_alu instid0(VALU_DEP_2) | instskip(SKIP_1) | instid1(VALU_DEP_3)
	v_fma_f64 v[15:16], v[13:14], v[10:11], v[2:3]
	v_fma_f64 v[10:11], v[13:14], v[10:11], -v[2:3]
	v_fma_f64 v[17:18], v[0:1], 0.5, v[4:5]
	v_fma_f64 v[4:5], v[0:1], 0.5, -v[4:5]
	s_delay_alu instid0(VALU_DEP_4) | instskip(NEXT) | instid1(VALU_DEP_4)
	v_fma_f64 v[2:3], -v[8:9], v[6:7], v[15:16]
	v_fma_f64 v[6:7], -v[8:9], v[6:7], v[10:11]
	s_delay_alu instid0(VALU_DEP_4) | instskip(NEXT) | instid1(VALU_DEP_4)
	v_fma_f64 v[0:1], v[13:14], v[8:9], v[17:18]
	v_fma_f64 v[4:5], -v[13:14], v[8:9], v[4:5]
	ds_store_b128 v100, v[0:3]
	ds_store_b128 v12, v[4:7] offset:10816
	s_waitcnt lgkmcnt(0)
	s_barrier
	buffer_gl0_inv
	s_and_saveexec_b32 s0, vcc_lo
	s_cbranch_execz .LBB0_24
; %bb.22:
	v_mul_lo_u32 v2, s3, v120
	v_mul_lo_u32 v3, s2, v121
	v_mad_u64_u32 v[0:1], null, s2, v120, 0
	v_dual_mov_b32 v117, 0 :: v_dual_add_nc_u32 v12, 52, v116
	v_lshlrev_b64 v[10:11], 4, v[118:119]
	v_lshl_add_u32 v28, v116, 4, 0
	s_delay_alu instid0(VALU_DEP_3)
	v_dual_mov_b32 v13, v117 :: v_dual_add_nc_u32 v14, 0x68, v116
	v_add3_u32 v1, v1, v3, v2
	v_lshlrev_b64 v[16:17], 4, v[116:117]
	v_dual_mov_b32 v15, v117 :: v_dual_add_nc_u32 v24, 0x9c, v116
	ds_load_b128 v[2:5], v28
	ds_load_b128 v[6:9], v28 offset:832
	v_lshlrev_b64 v[0:1], 4, v[0:1]
	v_lshlrev_b64 v[18:19], 4, v[12:13]
	;; [unrolled: 1-line block ×3, first 2 shown]
	v_dual_mov_b32 v25, v117 :: v_dual_add_nc_u32 v26, 0xd0, v116
	v_mov_b32_e32 v27, v117
	v_add_co_u32 v0, vcc_lo, s6, v0
	v_add_co_ci_u32_e32 v1, vcc_lo, s7, v1, vcc_lo
	s_delay_alu instid0(VALU_DEP_4) | instskip(NEXT) | instid1(VALU_DEP_3)
	v_lshlrev_b64 v[24:25], 4, v[24:25]
	v_add_co_u32 v0, vcc_lo, v0, v10
	s_delay_alu instid0(VALU_DEP_3) | instskip(NEXT) | instid1(VALU_DEP_2)
	v_add_co_ci_u32_e32 v1, vcc_lo, v1, v11, vcc_lo
	v_add_co_u32 v22, vcc_lo, v0, v16
	s_delay_alu instid0(VALU_DEP_2)
	v_add_co_ci_u32_e32 v23, vcc_lo, v1, v17, vcc_lo
	ds_load_b128 v[10:13], v28 offset:1664
	ds_load_b128 v[14:17], v28 offset:2496
	v_add_co_u32 v18, vcc_lo, v0, v18
	v_add_co_ci_u32_e32 v19, vcc_lo, v1, v19, vcc_lo
	v_add_co_u32 v20, vcc_lo, v0, v20
	v_add_co_ci_u32_e32 v21, vcc_lo, v1, v21, vcc_lo
	;; [unrolled: 2-line block ×3, first 2 shown]
	s_waitcnt lgkmcnt(3)
	global_store_b128 v[22:23], v[2:5], off
	s_waitcnt lgkmcnt(2)
	global_store_b128 v[18:19], v[6:9], off
	;; [unrolled: 2-line block ×4, first 2 shown]
	v_add_nc_u32_e32 v10, 0x104, v116
	v_lshlrev_b64 v[2:3], 4, v[26:27]
	v_dual_mov_b32 v11, v117 :: v_dual_add_nc_u32 v12, 0x138, v116
	v_dual_mov_b32 v13, v117 :: v_dual_add_nc_u32 v24, 0x16c, v116
	;; [unrolled: 1-line block ×3, first 2 shown]
	s_delay_alu instid0(VALU_DEP_4)
	v_add_co_u32 v18, vcc_lo, v0, v2
	v_add_co_ci_u32_e32 v19, vcc_lo, v1, v3, vcc_lo
	ds_load_b128 v[2:5], v28 offset:3328
	ds_load_b128 v[6:9], v28 offset:4160
	v_lshlrev_b64 v[20:21], 4, v[10:11]
	v_lshlrev_b64 v[22:23], 4, v[12:13]
	ds_load_b128 v[10:13], v28 offset:4992
	ds_load_b128 v[14:17], v28 offset:5824
	v_lshlrev_b64 v[24:25], 4, v[24:25]
	v_add_co_u32 v20, vcc_lo, v0, v20
	v_add_co_ci_u32_e32 v21, vcc_lo, v1, v21, vcc_lo
	v_add_co_u32 v22, vcc_lo, v0, v22
	v_add_co_ci_u32_e32 v23, vcc_lo, v1, v23, vcc_lo
	;; [unrolled: 2-line block ×3, first 2 shown]
	s_waitcnt lgkmcnt(3)
	global_store_b128 v[18:19], v[2:5], off
	s_waitcnt lgkmcnt(2)
	global_store_b128 v[20:21], v[6:9], off
	;; [unrolled: 2-line block ×4, first 2 shown]
	v_lshlrev_b64 v[2:3], 4, v[26:27]
	v_dual_mov_b32 v11, v117 :: v_dual_add_nc_u32 v10, 0x1d4, v116
	v_dual_mov_b32 v13, v117 :: v_dual_add_nc_u32 v12, 0x208, v116
	;; [unrolled: 1-line block ×3, first 2 shown]
	s_delay_alu instid0(VALU_DEP_4)
	v_add_co_u32 v18, vcc_lo, v0, v2
	v_add_co_ci_u32_e32 v19, vcc_lo, v1, v3, vcc_lo
	ds_load_b128 v[2:5], v28 offset:6656
	ds_load_b128 v[6:9], v28 offset:7488
	v_lshlrev_b64 v[20:21], 4, v[10:11]
	v_lshlrev_b64 v[22:23], 4, v[12:13]
	ds_load_b128 v[10:13], v28 offset:8320
	ds_load_b128 v[14:17], v28 offset:9152
	v_lshlrev_b64 v[24:25], 4, v[24:25]
	v_add_nc_u32_e32 v26, 0x270, v116
	v_add_co_u32 v20, vcc_lo, v0, v20
	v_add_co_ci_u32_e32 v21, vcc_lo, v1, v21, vcc_lo
	v_add_co_u32 v22, vcc_lo, v0, v22
	v_add_co_ci_u32_e32 v23, vcc_lo, v1, v23, vcc_lo
	v_add_co_u32 v24, vcc_lo, v0, v24
	v_add_co_ci_u32_e32 v25, vcc_lo, v1, v25, vcc_lo
	s_waitcnt lgkmcnt(3)
	global_store_b128 v[18:19], v[2:5], off
	s_waitcnt lgkmcnt(2)
	global_store_b128 v[20:21], v[6:9], off
	s_waitcnt lgkmcnt(1)
	global_store_b128 v[22:23], v[10:13], off
	s_waitcnt lgkmcnt(0)
	global_store_b128 v[24:25], v[14:17], off
	v_mov_b32_e32 v11, v117
	v_lshlrev_b64 v[2:3], 4, v[26:27]
	v_dual_mov_b32 v13, v117 :: v_dual_add_nc_u32 v10, 0x2a4, v116
	v_dual_mov_b32 v25, v117 :: v_dual_add_nc_u32 v12, 0x2d8, v116
	v_add_nc_u32_e32 v24, 0x30c, v116
	s_delay_alu instid0(VALU_DEP_4)
	v_add_co_u32 v18, vcc_lo, v0, v2
	v_add_co_ci_u32_e32 v19, vcc_lo, v1, v3, vcc_lo
	ds_load_b128 v[2:5], v28 offset:9984
	ds_load_b128 v[6:9], v28 offset:10816
	v_lshlrev_b64 v[20:21], 4, v[10:11]
	v_lshlrev_b64 v[22:23], 4, v[12:13]
	ds_load_b128 v[10:13], v28 offset:11648
	ds_load_b128 v[14:17], v28 offset:12480
	v_lshlrev_b64 v[24:25], 4, v[24:25]
	v_add_nc_u32_e32 v26, 0x340, v116
	v_add_co_u32 v20, vcc_lo, v0, v20
	v_add_co_ci_u32_e32 v21, vcc_lo, v1, v21, vcc_lo
	v_add_co_u32 v22, vcc_lo, v0, v22
	v_add_co_ci_u32_e32 v23, vcc_lo, v1, v23, vcc_lo
	v_add_co_u32 v24, vcc_lo, v0, v24
	v_add_co_ci_u32_e32 v25, vcc_lo, v1, v25, vcc_lo
	s_waitcnt lgkmcnt(3)
	global_store_b128 v[18:19], v[2:5], off
	s_waitcnt lgkmcnt(2)
	global_store_b128 v[20:21], v[6:9], off
	s_waitcnt lgkmcnt(1)
	global_store_b128 v[22:23], v[10:13], off
	s_waitcnt lgkmcnt(0)
	global_store_b128 v[24:25], v[14:17], off
	v_mov_b32_e32 v13, v117
	v_lshlrev_b64 v[2:3], 4, v[26:27]
	v_dual_mov_b32 v25, v117 :: v_dual_add_nc_u32 v10, 0x374, v116
	v_dual_mov_b32 v11, v117 :: v_dual_add_nc_u32 v12, 0x3a8, v116
	v_add_nc_u32_e32 v24, 0x3dc, v116
	;; [unrolled: 30-line block ×3, first 2 shown]
	s_delay_alu instid0(VALU_DEP_4)
	v_add_co_u32 v18, vcc_lo, v0, v2
	v_add_co_ci_u32_e32 v19, vcc_lo, v1, v3, vcc_lo
	ds_load_b128 v[2:5], v28 offset:16640
	ds_load_b128 v[6:9], v28 offset:17472
	v_lshlrev_b64 v[20:21], 4, v[10:11]
	v_lshlrev_b64 v[22:23], 4, v[12:13]
	ds_load_b128 v[10:13], v28 offset:18304
	ds_load_b128 v[14:17], v28 offset:19136
	v_lshlrev_b64 v[24:25], 4, v[24:25]
	v_add_co_u32 v20, vcc_lo, v0, v20
	v_add_co_ci_u32_e32 v21, vcc_lo, v1, v21, vcc_lo
	v_add_co_u32 v22, vcc_lo, v0, v22
	v_add_co_ci_u32_e32 v23, vcc_lo, v1, v23, vcc_lo
	;; [unrolled: 2-line block ×3, first 2 shown]
	v_cmp_eq_u32_e32 vcc_lo, 51, v116
	s_waitcnt lgkmcnt(3)
	global_store_b128 v[18:19], v[2:5], off
	s_waitcnt lgkmcnt(2)
	global_store_b128 v[20:21], v[6:9], off
	;; [unrolled: 2-line block ×4, first 2 shown]
	s_and_b32 exec_lo, exec_lo, vcc_lo
	s_cbranch_execz .LBB0_24
; %bb.23:
	ds_load_b128 v[2:5], v117 offset:19968
	v_add_co_u32 v0, vcc_lo, 0x4000, v0
	v_add_co_ci_u32_e32 v1, vcc_lo, 0, v1, vcc_lo
	s_waitcnt lgkmcnt(0)
	global_store_b128 v[0:1], v[2:5], off offset:3584
.LBB0_24:
	s_nop 0
	s_sendmsg sendmsg(MSG_DEALLOC_VGPRS)
	s_endpgm
	.section	.rodata,"a",@progbits
	.p2align	6, 0x0
	.amdhsa_kernel fft_rtc_fwd_len1248_factors_2_2_13_2_3_2_2_wgs_52_tpt_52_halfLds_dp_op_CI_CI_unitstride_sbrr_R2C_dirReg
		.amdhsa_group_segment_fixed_size 0
		.amdhsa_private_segment_fixed_size 444
		.amdhsa_kernarg_size 104
		.amdhsa_user_sgpr_count 15
		.amdhsa_user_sgpr_dispatch_ptr 0
		.amdhsa_user_sgpr_queue_ptr 0
		.amdhsa_user_sgpr_kernarg_segment_ptr 1
		.amdhsa_user_sgpr_dispatch_id 0
		.amdhsa_user_sgpr_private_segment_size 0
		.amdhsa_wavefront_size32 1
		.amdhsa_uses_dynamic_stack 0
		.amdhsa_enable_private_segment 1
		.amdhsa_system_sgpr_workgroup_id_x 1
		.amdhsa_system_sgpr_workgroup_id_y 0
		.amdhsa_system_sgpr_workgroup_id_z 0
		.amdhsa_system_sgpr_workgroup_info 0
		.amdhsa_system_vgpr_workitem_id 0
		.amdhsa_next_free_vgpr 256
		.amdhsa_next_free_sgpr 46
		.amdhsa_reserve_vcc 1
		.amdhsa_float_round_mode_32 0
		.amdhsa_float_round_mode_16_64 0
		.amdhsa_float_denorm_mode_32 3
		.amdhsa_float_denorm_mode_16_64 3
		.amdhsa_dx10_clamp 1
		.amdhsa_ieee_mode 1
		.amdhsa_fp16_overflow 0
		.amdhsa_workgroup_processor_mode 1
		.amdhsa_memory_ordered 1
		.amdhsa_forward_progress 0
		.amdhsa_shared_vgpr_count 0
		.amdhsa_exception_fp_ieee_invalid_op 0
		.amdhsa_exception_fp_denorm_src 0
		.amdhsa_exception_fp_ieee_div_zero 0
		.amdhsa_exception_fp_ieee_overflow 0
		.amdhsa_exception_fp_ieee_underflow 0
		.amdhsa_exception_fp_ieee_inexact 0
		.amdhsa_exception_int_div_zero 0
	.end_amdhsa_kernel
	.text
.Lfunc_end0:
	.size	fft_rtc_fwd_len1248_factors_2_2_13_2_3_2_2_wgs_52_tpt_52_halfLds_dp_op_CI_CI_unitstride_sbrr_R2C_dirReg, .Lfunc_end0-fft_rtc_fwd_len1248_factors_2_2_13_2_3_2_2_wgs_52_tpt_52_halfLds_dp_op_CI_CI_unitstride_sbrr_R2C_dirReg
                                        ; -- End function
	.section	.AMDGPU.csdata,"",@progbits
; Kernel info:
; codeLenInByte = 27168
; NumSgprs: 48
; NumVgprs: 256
; ScratchSize: 444
; MemoryBound: 0
; FloatMode: 240
; IeeeMode: 1
; LDSByteSize: 0 bytes/workgroup (compile time only)
; SGPRBlocks: 5
; VGPRBlocks: 31
; NumSGPRsForWavesPerEU: 48
; NumVGPRsForWavesPerEU: 256
; Occupancy: 5
; WaveLimiterHint : 1
; COMPUTE_PGM_RSRC2:SCRATCH_EN: 1
; COMPUTE_PGM_RSRC2:USER_SGPR: 15
; COMPUTE_PGM_RSRC2:TRAP_HANDLER: 0
; COMPUTE_PGM_RSRC2:TGID_X_EN: 1
; COMPUTE_PGM_RSRC2:TGID_Y_EN: 0
; COMPUTE_PGM_RSRC2:TGID_Z_EN: 0
; COMPUTE_PGM_RSRC2:TIDIG_COMP_CNT: 0
	.text
	.p2alignl 7, 3214868480
	.fill 96, 4, 3214868480
	.type	__hip_cuid_a66e84371987eae1,@object ; @__hip_cuid_a66e84371987eae1
	.section	.bss,"aw",@nobits
	.globl	__hip_cuid_a66e84371987eae1
__hip_cuid_a66e84371987eae1:
	.byte	0                               ; 0x0
	.size	__hip_cuid_a66e84371987eae1, 1

	.ident	"AMD clang version 19.0.0git (https://github.com/RadeonOpenCompute/llvm-project roc-6.4.0 25133 c7fe45cf4b819c5991fe208aaa96edf142730f1d)"
	.section	".note.GNU-stack","",@progbits
	.addrsig
	.addrsig_sym __hip_cuid_a66e84371987eae1
	.amdgpu_metadata
---
amdhsa.kernels:
  - .args:
      - .actual_access:  read_only
        .address_space:  global
        .offset:         0
        .size:           8
        .value_kind:     global_buffer
      - .offset:         8
        .size:           8
        .value_kind:     by_value
      - .actual_access:  read_only
        .address_space:  global
        .offset:         16
        .size:           8
        .value_kind:     global_buffer
      - .actual_access:  read_only
        .address_space:  global
        .offset:         24
        .size:           8
        .value_kind:     global_buffer
      - .actual_access:  read_only
        .address_space:  global
        .offset:         32
        .size:           8
        .value_kind:     global_buffer
      - .offset:         40
        .size:           8
        .value_kind:     by_value
      - .actual_access:  read_only
        .address_space:  global
        .offset:         48
        .size:           8
        .value_kind:     global_buffer
      - .actual_access:  read_only
        .address_space:  global
        .offset:         56
        .size:           8
        .value_kind:     global_buffer
      - .offset:         64
        .size:           4
        .value_kind:     by_value
      - .actual_access:  read_only
        .address_space:  global
        .offset:         72
        .size:           8
        .value_kind:     global_buffer
      - .actual_access:  read_only
        .address_space:  global
        .offset:         80
        .size:           8
        .value_kind:     global_buffer
      - .actual_access:  read_only
        .address_space:  global
        .offset:         88
        .size:           8
        .value_kind:     global_buffer
      - .actual_access:  write_only
        .address_space:  global
        .offset:         96
        .size:           8
        .value_kind:     global_buffer
    .group_segment_fixed_size: 0
    .kernarg_segment_align: 8
    .kernarg_segment_size: 104
    .language:       OpenCL C
    .language_version:
      - 2
      - 0
    .max_flat_workgroup_size: 52
    .name:           fft_rtc_fwd_len1248_factors_2_2_13_2_3_2_2_wgs_52_tpt_52_halfLds_dp_op_CI_CI_unitstride_sbrr_R2C_dirReg
    .private_segment_fixed_size: 444
    .sgpr_count:     48
    .sgpr_spill_count: 0
    .symbol:         fft_rtc_fwd_len1248_factors_2_2_13_2_3_2_2_wgs_52_tpt_52_halfLds_dp_op_CI_CI_unitstride_sbrr_R2C_dirReg.kd
    .uniform_work_group_size: 1
    .uses_dynamic_stack: false
    .vgpr_count:     256
    .vgpr_spill_count: 138
    .wavefront_size: 32
    .workgroup_processor_mode: 1
amdhsa.target:   amdgcn-amd-amdhsa--gfx1100
amdhsa.version:
  - 1
  - 2
...

	.end_amdgpu_metadata
